;; amdgpu-corpus repo=ROCm/rocFFT kind=compiled arch=gfx1030 opt=O3
	.text
	.amdgcn_target "amdgcn-amd-amdhsa--gfx1030"
	.amdhsa_code_object_version 6
	.protected	bluestein_single_back_len1350_dim1_dp_op_CI_CI ; -- Begin function bluestein_single_back_len1350_dim1_dp_op_CI_CI
	.globl	bluestein_single_back_len1350_dim1_dp_op_CI_CI
	.p2align	8
	.type	bluestein_single_back_len1350_dim1_dp_op_CI_CI,@function
bluestein_single_back_len1350_dim1_dp_op_CI_CI: ; @bluestein_single_back_len1350_dim1_dp_op_CI_CI
; %bb.0:
	s_load_dwordx4 s[16:19], s[4:5], 0x28
	v_mul_u32_u24_e32 v1, 0x1e6, v0
	v_mov_b32_e32 v233, 0
	s_mov_b32 s0, exec_lo
	v_lshrrev_b32_e32 v1, 16, v1
	v_add_nc_u32_e32 v232, s6, v1
	s_waitcnt lgkmcnt(0)
	v_cmpx_gt_u64_e64 s[16:17], v[232:233]
	s_cbranch_execz .LBB0_26
; %bb.1:
	s_clause 0x1
	s_load_dwordx4 s[0:3], s[4:5], 0x18
	s_load_dwordx4 s[12:15], s[4:5], 0x0
	v_mul_lo_u16 v1, 0x87, v1
	s_mov_b32 s17, 0xbfee6f0e
	v_mov_b32_e32 v144, 4
	v_sub_nc_u16 v40, v0, v1
	v_and_b32_e32 v233, 0xffff, v40
	v_mul_lo_u16 v142, v40, 5
	v_lshlrev_b32_e32 v234, 4, v233
	v_add_co_u32 v198, s20, 0x87, v233
	s_waitcnt lgkmcnt(0)
	s_load_dwordx4 s[8:11], s[0:1], 0x0
	v_lshlrev_b32_sdwa v244, v144, v142 dst_sel:DWORD dst_unused:UNUSED_PAD src0_sel:DWORD src1_sel:WORD_0
	v_add_co_u32 v21, s0, s12, v234
	v_add_co_ci_u32_e64 v22, null, s13, 0, s0
	global_load_dwordx4 v[0:3], v234, s[12:13]
	v_add_co_u32 v4, vcc_lo, 0x1000, v21
	v_add_co_ci_u32_e32 v5, vcc_lo, 0, v22, vcc_lo
	v_add_co_u32 v8, vcc_lo, 0x2000, v21
	v_add_co_ci_u32_e32 v9, vcc_lo, 0, v22, vcc_lo
	v_add_co_u32 v12, vcc_lo, 0x3000, v21
	v_add_co_ci_u32_e32 v13, vcc_lo, 0, v22, vcc_lo
	v_add_co_u32 v14, vcc_lo, 0x4000, v21
	s_waitcnt lgkmcnt(0)
	v_mad_u64_u32 v[6:7], null, s10, v232, 0
	v_mad_u64_u32 v[10:11], null, s8, v233, 0
	v_add_co_ci_u32_e32 v15, vcc_lo, 0, v22, vcc_lo
	s_mul_i32 s0, s9, 0x10e0
	s_mul_hi_u32 s1, s8, 0x10e0
	v_mad_u64_u32 v[16:17], null, s11, v232, v[7:8]
	v_mad_u64_u32 v[19:20], null, s9, v233, v[11:12]
	v_add_co_u32 v17, vcc_lo, 0x800, v21
	v_add_co_ci_u32_e32 v18, vcc_lo, 0, v22, vcc_lo
	v_mov_b32_e32 v7, v16
	v_add_co_u32 v28, vcc_lo, 0x1800, v21
	v_add_co_ci_u32_e32 v29, vcc_lo, 0, v22, vcc_lo
	v_add_co_u32 v30, vcc_lo, 0x2800, v21
	v_mov_b32_e32 v11, v19
	v_lshlrev_b64 v[6:7], 4, v[6:7]
	v_add_co_ci_u32_e32 v31, vcc_lo, 0, v22, vcc_lo
	v_add_co_u32 v32, vcc_lo, 0x3800, v21
	v_add_co_ci_u32_e32 v33, vcc_lo, 0, v22, vcc_lo
	v_lshlrev_b64 v[10:11], 4, v[10:11]
	v_add_co_u32 v6, vcc_lo, s18, v6
	v_add_co_ci_u32_e32 v7, vcc_lo, s19, v7, vcc_lo
	s_mul_i32 s6, s8, 0x10e0
	v_add_co_u32 v34, vcc_lo, v6, v10
	v_add_co_ci_u32_e32 v35, vcc_lo, v7, v11, vcc_lo
	s_add_i32 s1, s1, s0
	v_add_co_u32 v45, vcc_lo, v34, s6
	v_add_co_ci_u32_e32 v46, vcc_lo, s1, v35, vcc_lo
	v_add_co_u32 v77, vcc_lo, 0x4800, v21
	v_add_co_ci_u32_e32 v78, vcc_lo, 0, v22, vcc_lo
	;; [unrolled: 2-line block ×3, first 2 shown]
	s_mul_i32 s0, s9, 0xffffc4f0
	v_add_co_u32 v53, vcc_lo, v49, s6
	v_add_co_ci_u32_e32 v54, vcc_lo, s1, v50, vcc_lo
	s_sub_i32 s0, s0, s8
	v_add_co_u32 v57, vcc_lo, v53, s6
	v_add_co_ci_u32_e32 v58, vcc_lo, s1, v54, vcc_lo
	s_clause 0x4
	global_load_dwordx4 v[36:39], v[4:5], off offset:224
	global_load_dwordx4 v[20:23], v[8:9], off offset:448
	;; [unrolled: 1-line block ×5, first 2 shown]
	v_mad_u64_u32 v[61:62], null, 0xffffc4f0, s8, v[57:58]
	s_clause 0x1
	global_load_dwordx4 v[12:15], v[28:29], off offset:336
	global_load_dwordx4 v[16:19], v[30:31], off offset:560
	s_clause 0x4
	global_load_dwordx4 v[41:44], v[34:35], off
	global_load_dwordx4 v[45:48], v[45:46], off
	;; [unrolled: 1-line block ×5, first 2 shown]
	s_mov_b32 s18, 0x372fe950
	v_add_nc_u32_e32 v62, s0, v62
	v_add_co_u32 v28, vcc_lo, v61, s6
	s_mov_b32 s19, 0x3fd3c6ef
	v_add_co_ci_u32_e64 v188, null, 0, 0, s20
	v_add_co_ci_u32_e32 v29, vcc_lo, s1, v62, vcc_lo
	v_add_co_u32 v30, vcc_lo, v28, s6
	global_load_dwordx4 v[61:64], v[61:62], off
	v_add_co_ci_u32_e32 v31, vcc_lo, s1, v29, vcc_lo
	v_add_co_u32 v34, vcc_lo, v30, s6
	global_load_dwordx4 v[65:68], v[28:29], off
	v_add_co_ci_u32_e32 v35, vcc_lo, s1, v31, vcc_lo
	v_add_co_u32 v79, vcc_lo, v34, s6
	s_mov_b32 s6, 0x134454ff
	v_add_co_ci_u32_e32 v80, vcc_lo, s1, v35, vcc_lo
	global_load_dwordx4 v[69:72], v[30:31], off
	global_load_dwordx4 v[28:31], v[32:33], off offset:784
	global_load_dwordx4 v[73:76], v[34:35], off
	global_load_dwordx4 v[32:35], v[77:78], off offset:1008
	global_load_dwordx4 v[77:80], v[79:80], off
	s_load_dwordx4 s[8:11], s[2:3], 0x0
	s_mov_b32 s7, 0x3fee6f0e
	s_mov_b32 s16, s6
	;; [unrolled: 1-line block ×8, first 2 shown]
	v_cmp_gt_u16_e32 vcc_lo, 45, v40
	s_waitcnt vmcnt(11)
	v_mul_f64 v[81:82], v[43:44], v[2:3]
	v_mul_f64 v[83:84], v[41:42], v[2:3]
	s_waitcnt vmcnt(10)
	v_mul_f64 v[85:86], v[47:48], v[38:39]
	v_mul_f64 v[87:88], v[45:46], v[38:39]
	;; [unrolled: 3-line block ×7, first 2 shown]
	v_fma_f64 v[41:42], v[41:42], v[0:1], v[81:82]
	v_fma_f64 v[43:44], v[43:44], v[0:1], -v[83:84]
	s_waitcnt vmcnt(4)
	v_mul_f64 v[109:110], v[71:72], v[18:19]
	v_mul_f64 v[111:112], v[69:70], v[18:19]
	s_waitcnt vmcnt(2)
	v_mul_f64 v[113:114], v[75:76], v[30:31]
	v_mul_f64 v[115:116], v[73:74], v[30:31]
	;; [unrolled: 3-line block ×3, first 2 shown]
	v_fma_f64 v[45:46], v[45:46], v[36:37], v[85:86]
	v_fma_f64 v[47:48], v[47:48], v[36:37], -v[87:88]
	v_fma_f64 v[49:50], v[49:50], v[20:21], v[89:90]
	v_fma_f64 v[51:52], v[51:52], v[20:21], -v[91:92]
	;; [unrolled: 2-line block ×5, first 2 shown]
	v_and_b32_e32 v81, 0xff, v40
	v_fma_f64 v[65:66], v[65:66], v[12:13], v[105:106]
	v_fma_f64 v[67:68], v[67:68], v[12:13], -v[107:108]
	v_fma_f64 v[69:70], v[69:70], v[16:17], v[109:110]
	v_fma_f64 v[71:72], v[71:72], v[16:17], -v[111:112]
	;; [unrolled: 2-line block ×4, first 2 shown]
	ds_write_b128 v234, v[41:44]
	ds_write_b128 v234, v[45:48] offset:4320
	ds_write_b128 v234, v[49:52] offset:8640
	;; [unrolled: 1-line block ×9, first 2 shown]
	s_waitcnt lgkmcnt(0)
	s_barrier
	buffer_gl0_inv
	ds_read_b128 v[42:45], v234
	ds_read_b128 v[46:49], v234 offset:4320
	ds_read_b128 v[50:53], v234 offset:8640
	;; [unrolled: 1-line block ×8, first 2 shown]
	v_mul_lo_u16 v41, 0xcd, v81
	ds_read_b128 v[78:81], v234 offset:2160
	s_waitcnt lgkmcnt(0)
	s_barrier
	buffer_gl0_inv
	v_lshrrev_b16 v41, 10, v41
	v_mul_lo_u16 v143, v41, 5
	v_add_f64 v[82:83], v[42:43], v[46:47]
	v_add_f64 v[84:85], v[44:45], v[48:49]
	;; [unrolled: 1-line block ×10, first 2 shown]
	v_add_f64 v[88:89], v[48:49], -v[60:61]
	v_add_f64 v[98:99], v[46:47], -v[50:51]
	;; [unrolled: 1-line block ×6, first 2 shown]
	v_add_f64 v[114:115], v[78:79], v[62:63]
	v_add_f64 v[116:117], v[80:81], v[64:65]
	v_add_f64 v[48:49], v[52:53], -v[48:49]
	v_add_f64 v[118:119], v[54:55], -v[58:59]
	;; [unrolled: 1-line block ×6, first 2 shown]
	v_fma_f64 v[86:87], v[86:87], -0.5, v[42:43]
	v_fma_f64 v[92:93], v[92:93], -0.5, v[44:45]
	;; [unrolled: 1-line block ×4, first 2 shown]
	v_add_f64 v[122:123], v[64:65], -v[76:77]
	v_add_f64 v[124:125], v[62:63], -v[66:67]
	;; [unrolled: 1-line block ×4, first 2 shown]
	v_fma_f64 v[100:101], v[100:101], -0.5, v[78:79]
	v_add_f64 v[50:51], v[82:83], v[50:51]
	v_fma_f64 v[82:83], v[104:105], -0.5, v[80:81]
	v_add_f64 v[134:135], v[74:75], -v[70:71]
	v_add_f64 v[136:137], v[68:69], -v[72:73]
	;; [unrolled: 1-line block ×4, first 2 shown]
	v_fma_f64 v[78:79], v[102:103], -0.5, v[78:79]
	v_fma_f64 v[80:81], v[106:107], -0.5, v[80:81]
	v_add_f64 v[52:53], v[84:85], v[52:53]
	v_add_f64 v[128:129], v[64:65], -v[68:69]
	v_add_f64 v[64:65], v[68:69], -v[64:65]
	v_add_f64 v[66:67], v[114:115], v[66:67]
	v_add_f64 v[68:69], v[116:117], v[68:69]
	;; [unrolled: 1-line block ×5, first 2 shown]
	v_fma_f64 v[48:49], v[88:89], s[6:7], v[86:87]
	v_fma_f64 v[86:87], v[88:89], s[16:17], v[86:87]
	v_fma_f64 v[110:111], v[46:47], s[16:17], v[92:93]
	v_add_f64 v[102:103], v[112:113], v[130:131]
	v_fma_f64 v[108:109], v[96:97], s[16:17], v[42:43]
	v_fma_f64 v[42:43], v[96:97], s[6:7], v[42:43]
	;; [unrolled: 1-line block ×5, first 2 shown]
	v_add_f64 v[94:95], v[76:77], -v[72:73]
	v_fma_f64 v[114:115], v[122:123], s[6:7], v[100:101]
	v_fma_f64 v[118:119], v[62:63], s[16:17], v[82:83]
	v_add_f64 v[140:141], v[72:73], -v[76:77]
	v_add_f64 v[106:107], v[124:125], v[134:135]
	v_fma_f64 v[116:117], v[136:137], s[16:17], v[78:79]
	v_fma_f64 v[78:79], v[136:137], s[6:7], v[78:79]
	;; [unrolled: 1-line block ×3, first 2 shown]
	v_add_f64 v[124:125], v[126:127], v[138:139]
	v_fma_f64 v[126:127], v[90:91], s[6:7], v[80:81]
	v_fma_f64 v[80:81], v[90:91], s[16:17], v[80:81]
	;; [unrolled: 1-line block ×3, first 2 shown]
	v_add_f64 v[50:51], v[50:51], v[54:55]
	v_add_f64 v[52:53], v[52:53], v[56:57]
	;; [unrolled: 1-line block ×4, first 2 shown]
	v_fma_f64 v[66:67], v[96:97], s[0:1], v[48:49]
	v_fma_f64 v[68:69], v[96:97], s[2:3], v[86:87]
	;; [unrolled: 1-line block ×8, first 2 shown]
	v_add_f64 v[94:95], v[128:129], v[94:95]
	v_fma_f64 v[108:109], v[136:137], s[0:1], v[114:115]
	v_fma_f64 v[112:113], v[90:91], s[2:3], v[118:119]
	;; [unrolled: 1-line block ×5, first 2 shown]
	v_add_f64 v[90:91], v[64:65], v[140:141]
	v_fma_f64 v[114:115], v[62:63], s[2:3], v[126:127]
	v_fma_f64 v[116:117], v[62:63], s[0:1], v[80:81]
	;; [unrolled: 1-line block ×3, first 2 shown]
	v_add_f64 v[43:44], v[50:51], v[58:59]
	v_add_f64 v[45:46], v[52:53], v[60:61]
	v_add_f64 v[47:48], v[54:55], v[74:75]
	v_sub_nc_u16 v42, v40, v143
	v_fma_f64 v[51:52], v[84:85], s[18:19], v[66:67]
	v_add_f64 v[49:50], v[56:57], v[76:77]
	v_fma_f64 v[53:54], v[102:103], s[18:19], v[86:87]
	v_fma_f64 v[59:60], v[98:99], s[18:19], v[70:71]
	;; [unrolled: 1-line block ×12, first 2 shown]
	v_mul_u32_u24_e32 v83, 5, v198
	v_fma_f64 v[77:78], v[90:91], s[18:19], v[114:115]
	v_fma_f64 v[81:82], v[90:91], s[18:19], v[116:117]
	;; [unrolled: 1-line block ×3, first 2 shown]
	v_and_b32_e32 v42, 0xff, v42
	v_lshlrev_b32_e32 v243, 4, v83
	ds_write_b128 v244, v[43:46]
	ds_write_b128 v244, v[51:54] offset:16
	ds_write_b128 v244, v[59:62] offset:32
	;; [unrolled: 1-line block ×4, first 2 shown]
	ds_write_b128 v243, v[47:50]
	ds_write_b128 v243, v[67:70] offset:16
	ds_write_b128 v243, v[75:78] offset:32
	;; [unrolled: 1-line block ×4, first 2 shown]
	v_mad_u64_u32 v[83:84], null, 0x90, v42, s[14:15]
	s_waitcnt lgkmcnt(0)
	s_barrier
	buffer_gl0_inv
	s_clause 0x8
	global_load_dwordx4 v[136:139], v[83:84], off offset:64
	global_load_dwordx4 v[120:123], v[83:84], off offset:96
	;; [unrolled: 1-line block ×4, first 2 shown]
	global_load_dwordx4 v[168:171], v[83:84], off
	global_load_dwordx4 v[164:167], v[83:84], off offset:16
	global_load_dwordx4 v[160:163], v[83:84], off offset:48
	;; [unrolled: 1-line block ×4, first 2 shown]
	ds_read_b128 v[43:46], v234 offset:10800
	ds_read_b128 v[47:50], v234 offset:15120
	;; [unrolled: 1-line block ×9, first 2 shown]
	ds_read_b128 v[79:82], v234
	s_waitcnt vmcnt(0) lgkmcnt(0)
	s_barrier
	buffer_gl0_inv
	v_mul_f64 v[83:84], v[45:46], v[138:139]
	v_mul_f64 v[85:86], v[43:44], v[138:139]
	;; [unrolled: 1-line block ×16, first 2 shown]
	v_fma_f64 v[43:44], v[43:44], v[136:137], -v[83:84]
	v_fma_f64 v[45:46], v[45:46], v[136:137], v[85:86]
	v_fma_f64 v[49:50], v[49:50], v[120:121], v[87:88]
	v_fma_f64 v[47:48], v[47:48], v[120:121], -v[89:90]
	v_fma_f64 v[51:52], v[51:52], v[152:153], -v[91:92]
	v_fma_f64 v[53:54], v[53:54], v[152:153], v[93:94]
	v_fma_f64 v[57:58], v[57:58], v[132:133], v[95:96]
	v_fma_f64 v[55:56], v[55:56], v[132:133], -v[97:98]
	v_mul_f64 v[83:84], v[71:72], v[158:159]
	v_mul_f64 v[85:86], v[75:76], v[142:143]
	v_fma_f64 v[59:60], v[59:60], v[168:169], -v[99:100]
	v_fma_f64 v[61:62], v[61:62], v[168:169], v[101:102]
	v_fma_f64 v[63:64], v[63:64], v[164:165], -v[103:104]
	v_fma_f64 v[67:68], v[67:68], v[160:161], -v[107:108]
	;; [unrolled: 1-line block ×4, first 2 shown]
	v_fma_f64 v[65:66], v[65:66], v[164:165], v[105:106]
	v_fma_f64 v[69:70], v[69:70], v[160:161], v[109:110]
	v_add_f64 v[87:88], v[45:46], v[49:50]
	v_add_f64 v[89:90], v[43:44], v[47:48]
	v_add_f64 v[99:100], v[43:44], -v[47:48]
	v_add_f64 v[101:102], v[45:46], -v[49:50]
	v_add_f64 v[91:92], v[53:54], v[57:58]
	v_add_f64 v[93:94], v[51:52], v[55:56]
	v_fma_f64 v[73:74], v[73:74], v[156:157], v[83:84]
	v_fma_f64 v[77:78], v[77:78], v[140:141], v[85:86]
	v_add_f64 v[95:96], v[51:52], -v[55:56]
	v_add_f64 v[97:98], v[53:54], -v[57:58]
	v_add_f64 v[124:125], v[51:52], -v[43:44]
	v_add_f64 v[126:127], v[55:56], -v[47:48]
	v_add_f64 v[83:84], v[67:68], v[71:72]
	v_add_f64 v[85:86], v[63:64], v[75:76]
	v_add_f64 v[128:129], v[53:54], -v[45:46]
	v_add_f64 v[130:131], v[57:58], -v[49:50]
	;; [unrolled: 1-line block ×4, first 2 shown]
	v_add_f64 v[107:108], v[79:80], v[63:64]
	v_add_f64 v[109:110], v[81:82], v[65:66]
	v_add_f64 v[182:183], v[63:64], -v[75:76]
	v_add_f64 v[111:112], v[63:64], -v[67:68]
	v_fma_f64 v[87:88], v[87:88], -0.5, v[61:62]
	v_fma_f64 v[89:90], v[89:90], -0.5, v[59:60]
	v_add_f64 v[113:114], v[75:76], -v[71:72]
	v_add_f64 v[184:185], v[67:68], -v[71:72]
	v_fma_f64 v[91:92], v[91:92], -0.5, v[61:62]
	v_fma_f64 v[93:94], v[93:94], -0.5, v[59:60]
	v_add_f64 v[103:104], v[69:70], v[73:74]
	v_add_f64 v[105:106], v[65:66], v[77:78]
	;; [unrolled: 1-line block ×4, first 2 shown]
	v_add_f64 v[51:52], v[43:44], -v[51:52]
	v_add_f64 v[53:54], v[45:46], -v[53:54]
	;; [unrolled: 1-line block ×3, first 2 shown]
	v_fma_f64 v[83:84], v[83:84], -0.5, v[79:80]
	v_fma_f64 v[79:80], v[85:86], -0.5, v[79:80]
	v_add_f64 v[180:181], v[69:70], -v[73:74]
	v_add_f64 v[115:116], v[65:66], -v[69:70]
	v_add_f64 v[63:64], v[67:68], -v[63:64]
	v_add_f64 v[65:66], v[69:70], -v[65:66]
	v_add_f64 v[67:68], v[107:108], v[67:68]
	v_add_f64 v[69:70], v[109:110], v[69:70]
	v_add_f64 v[117:118], v[77:78], -v[73:74]
	v_fma_f64 v[147:148], v[95:96], s[16:17], v[87:88]
	v_fma_f64 v[149:150], v[97:98], s[6:7], v[89:90]
	;; [unrolled: 1-line block ×8, first 2 shown]
	v_fma_f64 v[85:86], v[103:104], -0.5, v[81:82]
	v_fma_f64 v[81:82], v[105:106], -0.5, v[81:82]
	v_add_f64 v[103:104], v[124:125], v[126:127]
	v_add_f64 v[105:106], v[128:129], v[130:131]
	;; [unrolled: 1-line block ×6, first 2 shown]
	v_add_f64 v[186:187], v[71:72], -v[75:76]
	v_add_f64 v[145:146], v[73:74], -v[77:78]
	v_add_f64 v[59:60], v[111:112], v[113:114]
	v_add_f64 v[67:68], v[67:68], v[71:72]
	;; [unrolled: 1-line block ×4, first 2 shown]
	v_fma_f64 v[124:125], v[99:100], s[2:3], v[147:148]
	v_fma_f64 v[126:127], v[101:102], s[0:1], v[149:150]
	;; [unrolled: 1-line block ×16, first 2 shown]
	v_add_f64 v[43:44], v[43:44], v[47:48]
	v_add_f64 v[45:46], v[45:46], v[49:50]
	;; [unrolled: 1-line block ×6, first 2 shown]
	v_fma_f64 v[107:108], v[105:106], s[18:19], v[124:125]
	v_fma_f64 v[109:110], v[103:104], s[18:19], v[126:127]
	;; [unrolled: 1-line block ×16, first 2 shown]
	v_add_f64 v[55:56], v[43:44], v[55:56]
	v_add_f64 v[57:58], v[45:46], v[57:58]
                                        ; implicit-def: $vgpr116_vgpr117
	v_mul_f64 v[91:92], v[107:108], s[0:1]
	v_mul_f64 v[93:94], v[109:110], s[2:3]
	;; [unrolled: 1-line block ×8, first 2 shown]
	v_fma_f64 v[75:76], v[59:60], s[18:19], v[47:48]
	v_fma_f64 v[77:78], v[61:62], s[18:19], v[49:50]
	;; [unrolled: 1-line block ×4, first 2 shown]
	v_add_f64 v[43:44], v[67:68], v[55:56]
	v_add_f64 v[45:46], v[69:70], v[57:58]
	v_add_f64 v[47:48], v[67:68], -v[55:56]
	v_add_f64 v[49:50], v[69:70], -v[57:58]
	v_fma_f64 v[91:92], v[109:110], s[20:21], v[91:92]
	v_fma_f64 v[93:94], v[107:108], s[20:21], v[93:94]
	;; [unrolled: 1-line block ×7, first 2 shown]
	v_fma_f64 v[80:81], v[53:54], s[6:7], -v[99:100]
	v_fma_f64 v[82:83], v[51:52], s[16:17], -v[101:102]
	v_fma_f64 v[84:85], v[61:62], s[18:19], v[85:86]
	v_fma_f64 v[86:87], v[87:88], s[0:1], -v[103:104]
	v_fma_f64 v[88:89], v[89:90], s[2:3], -v[105:106]
	v_mov_b32_e32 v90, 50
	s_load_dwordx2 s[2:3], s[4:5], 0x38
                                        ; implicit-def: $vgpr112_vgpr113
	v_mul_u32_u24_sdwa v41, v41, v90 dst_sel:DWORD dst_unused:UNUSED_PAD src0_sel:WORD_0 src1_sel:DWORD
	v_add_f64 v[51:52], v[75:76], v[91:92]
	v_add_f64 v[53:54], v[77:78], v[93:94]
	v_add_f64 v[55:56], v[75:76], -v[91:92]
	v_add_f64 v[57:58], v[77:78], -v[93:94]
	v_add_f64 v[59:60], v[71:72], v[63:64]
	v_add_f64 v[61:62], v[73:74], v[65:66]
	v_add_f64 v[63:64], v[71:72], -v[63:64]
	v_add_f64 v[67:68], v[107:108], v[80:81]
	v_add_f64 v[69:70], v[109:110], v[82:83]
	;; [unrolled: 3-line block ×3, first 2 shown]
	v_add_f64 v[80:81], v[107:108], -v[80:81]
	v_add_f64 v[82:83], v[109:110], -v[82:83]
	;; [unrolled: 1-line block ×4, first 2 shown]
	v_add_lshl_u32 v236, v41, v42, 4
	ds_write_b128 v236, v[43:46]
	ds_write_b128 v236, v[47:50] offset:400
	ds_write_b128 v236, v[51:54] offset:80
	;; [unrolled: 1-line block ×9, first 2 shown]
	s_waitcnt lgkmcnt(0)
	s_barrier
	buffer_gl0_inv
	ds_read_b128 v[84:87], v234
	ds_read_b128 v[76:79], v234 offset:2160
	ds_read_b128 v[100:103], v234 offset:14400
	;; [unrolled: 1-line block ×8, first 2 shown]
	s_and_saveexec_b32 s0, vcc_lo
	s_cbranch_execz .LBB0_3
; %bb.2:
	ds_read_b128 v[72:75], v234 offset:6480
	ds_read_b128 v[112:115], v234 offset:13680
	;; [unrolled: 1-line block ×3, first 2 shown]
.LBB0_3:
	s_or_b32 exec_lo, exec_lo, s0
	v_and_b32_e32 v40, 0xff, v233
	v_lshrrev_b16 v41, 1, v198
	v_mov_b32_e32 v42, 0x147b
	v_add_co_u32 v196, s7, 0x10e, v233
	v_add_co_u32 v199, s6, 0x195, v233
	v_mul_u32_u24_sdwa v41, v41, v42 dst_sel:DWORD dst_unused:UNUSED_PAD src0_sel:WORD_0 src1_sel:DWORD
	v_mul_lo_u16 v40, v40, 41
	v_lshrrev_b16 v190, 1, v196
	v_lshrrev_b16 v189, 1, v199
	s_mov_b32 s5, 0xbfebb67a
	v_lshrrev_b32_e32 v151, 17, v41
	v_lshrrev_b16 v195, 11, v40
	v_mul_u32_u24_sdwa v40, v190, v42 dst_sel:DWORD dst_unused:UNUSED_PAD src0_sel:WORD_0 src1_sel:DWORD
	v_mul_u32_u24_sdwa v41, v189, v42 dst_sel:DWORD dst_unused:UNUSED_PAD src0_sel:WORD_0 src1_sel:DWORD
	v_mov_b32_e32 v206, 0x96
	v_mul_lo_u16 v42, v151, 50
	v_mul_lo_u16 v43, v195, 50
	v_lshrrev_b32_e32 v202, 17, v40
	v_lshrrev_b32_e32 v40, 17, v41
	v_add_co_ci_u32_e64 v197, null, 0, 0, s7
	v_sub_nc_u16 v203, v198, v42
	v_mul_lo_u16 v42, v202, 50
	v_mul_lo_u16 v40, v40, 50
	v_sub_nc_u16 v41, v233, v43
	v_lshlrev_b16 v43, 5, v203
	v_sub_nc_u16 v205, v196, v42
	v_sub_nc_u16 v235, v199, v40
	v_and_b32_e32 v204, 0xff, v41
	v_and_b32_e32 v40, 0xffff, v43
	v_lshlrev_b16 v45, 5, v205
	v_lshlrev_b16 v46, 5, v235
	v_lshlrev_b32_e32 v44, 5, v204
	v_add_co_u32 v52, s0, s14, v40
	v_and_b32_e32 v45, 0xffff, v45
	v_and_b32_e32 v58, 0xffff, v46
	v_add_co_ci_u32_e64 v53, null, s15, 0, s0
	s_clause 0x1
	global_load_dwordx4 v[40:43], v44, s[14:15] offset:736
	global_load_dwordx4 v[48:51], v44, s[14:15] offset:720
	v_add_co_u32 v56, s0, s14, v45
	v_add_co_ci_u32_e64 v57, null, s15, 0, s0
	v_add_co_u32 v64, s0, s14, v58
	v_add_co_ci_u32_e64 v65, null, s15, 0, s0
	s_clause 0x5
	global_load_dwordx4 v[44:47], v[52:53], off offset:736
	global_load_dwordx4 v[52:55], v[52:53], off offset:720
	;; [unrolled: 1-line block ×6, first 2 shown]
	s_mov_b32 s0, 0xe8584caa
	s_mov_b32 s1, 0x3febb67a
	;; [unrolled: 1-line block ×3, first 2 shown]
	s_waitcnt vmcnt(0) lgkmcnt(0)
	s_barrier
	buffer_gl0_inv
	v_mul_f64 v[126:127], v[102:103], v[42:43]
	v_mul_f64 v[124:125], v[110:111], v[50:51]
	;; [unrolled: 1-line block ×16, first 2 shown]
	v_fma_f64 v[100:101], v[100:101], v[40:41], -v[126:127]
	v_fma_f64 v[108:109], v[108:109], v[48:49], -v[124:125]
	v_fma_f64 v[110:111], v[110:111], v[48:49], v[128:129]
	v_fma_f64 v[102:103], v[102:103], v[40:41], v[130:131]
	v_fma_f64 v[92:93], v[92:93], v[60:61], -v[174:175]
	v_fma_f64 v[88:89], v[88:89], v[44:45], -v[147:148]
	;; [unrolled: 1-line block ×3, first 2 shown]
	v_fma_f64 v[106:107], v[106:107], v[52:53], v[149:150]
	v_fma_f64 v[90:91], v[90:91], v[44:45], v[172:173]
	v_fma_f64 v[112:113], v[112:113], v[68:69], -v[182:183]
	v_fma_f64 v[116:117], v[116:117], v[64:65], -v[184:185]
	v_fma_f64 v[114:115], v[114:115], v[68:69], v[186:187]
	v_fma_f64 v[118:119], v[118:119], v[64:65], v[191:192]
	v_fma_f64 v[96:97], v[96:97], v[56:57], -v[176:177]
	v_fma_f64 v[94:95], v[94:95], v[60:61], v[178:179]
	v_fma_f64 v[98:99], v[98:99], v[56:57], v[180:181]
	v_add_f64 v[124:125], v[108:109], v[100:101]
	v_add_f64 v[147:148], v[84:85], v[108:109]
	;; [unrolled: 1-line block ×3, first 2 shown]
	v_add_f64 v[172:173], v[110:111], -v[102:103]
	v_add_f64 v[110:111], v[86:87], v[110:111]
	v_add_f64 v[108:109], v[108:109], -v[100:101]
	v_add_f64 v[182:183], v[80:81], v[92:93]
	v_add_f64 v[128:129], v[104:105], v[88:89]
	;; [unrolled: 1-line block ×12, first 2 shown]
	v_add_f64 v[106:107], v[106:107], -v[90:91]
	v_add_f64 v[104:105], v[104:105], -v[88:89]
	v_fma_f64 v[124:125], v[124:125], -0.5, v[84:85]
	v_add_f64 v[114:115], v[114:115], -v[118:119]
	v_fma_f64 v[126:127], v[126:127], -0.5, v[86:87]
	v_add_f64 v[112:113], v[112:113], -v[116:117]
	v_add_f64 v[193:194], v[94:95], -v[98:99]
	;; [unrolled: 1-line block ×3, first 2 shown]
	v_add_f64 v[84:85], v[182:183], v[96:97]
	v_fma_f64 v[128:129], v[128:129], -0.5, v[76:77]
	v_add_f64 v[76:77], v[147:148], v[100:101]
	v_fma_f64 v[130:131], v[130:131], -0.5, v[78:79]
	;; [unrolled: 2-line block ×4, first 2 shown]
	v_fma_f64 v[145:146], v[145:146], -0.5, v[80:81]
	v_add_f64 v[80:81], v[178:179], v[88:89]
	v_fma_f64 v[149:150], v[149:150], -0.5, v[82:83]
	v_add_f64 v[82:83], v[180:181], v[90:91]
	v_add_f64 v[86:87], v[184:185], v[98:99]
	;; [unrolled: 1-line block ×3, first 2 shown]
	v_fma_f64 v[88:89], v[172:173], s[0:1], v[124:125]
	v_fma_f64 v[92:93], v[172:173], s[4:5], v[124:125]
	v_fma_f64 v[90:91], v[108:109], s[4:5], v[126:127]
	v_fma_f64 v[94:95], v[108:109], s[0:1], v[126:127]
	v_fma_f64 v[96:97], v[106:107], s[0:1], v[128:129]
	v_fma_f64 v[100:101], v[106:107], s[4:5], v[128:129]
	v_fma_f64 v[98:99], v[104:105], s[4:5], v[130:131]
	v_fma_f64 v[102:103], v[104:105], s[0:1], v[130:131]
	v_fma_f64 v[124:125], v[114:115], s[0:1], v[174:175]
	v_fma_f64 v[128:129], v[114:115], s[4:5], v[174:175]
	v_fma_f64 v[126:127], v[112:113], s[4:5], v[147:148]
	v_fma_f64 v[130:131], v[112:113], s[0:1], v[147:148]
	v_fma_f64 v[104:105], v[193:194], s[0:1], v[145:146]
	v_fma_f64 v[106:107], v[200:201], s[4:5], v[149:150]
	v_fma_f64 v[108:109], v[193:194], s[4:5], v[145:146]
	v_fma_f64 v[110:111], v[200:201], s[0:1], v[149:150]
	v_mul_u32_u24_sdwa v112, v195, v206 dst_sel:DWORD dst_unused:UNUSED_PAD src0_sel:WORD_0 src1_sel:DWORD
	v_mad_u16 v113, 0x96, v151, v203
	v_mad_u16 v114, 0x96, v202, v205
	v_add_co_ci_u32_e64 v200, null, 0, 0, s6
	v_add_lshl_u32 v240, v112, v204, 4
	v_lshlrev_b32_sdwa v239, v144, v113 dst_sel:DWORD dst_unused:UNUSED_PAD src0_sel:DWORD src1_sel:WORD_0
	v_lshlrev_b32_sdwa v238, v144, v114 dst_sel:DWORD dst_unused:UNUSED_PAD src0_sel:DWORD src1_sel:WORD_0
	ds_write_b128 v240, v[76:79]
	ds_write_b128 v240, v[88:91] offset:800
	ds_write_b128 v240, v[92:95] offset:1600
	ds_write_b128 v239, v[80:83]
	ds_write_b128 v239, v[96:99] offset:800
	ds_write_b128 v239, v[100:103] offset:1600
	ds_write_b128 v238, v[84:87]
	ds_write_b128 v238, v[104:107] offset:800
	ds_write_b128 v238, v[108:111] offset:1600
	s_and_saveexec_b32 s0, vcc_lo
	s_cbranch_execz .LBB0_5
; %bb.4:
	v_mov_b32_e32 v76, 4
	v_lshlrev_b32_sdwa v76, v76, v235 dst_sel:DWORD dst_unused:UNUSED_PAD src0_sel:DWORD src1_sel:WORD_0
	ds_write_b128 v76, v[72:75] offset:19200
	ds_write_b128 v76, v[124:127] offset:20000
	;; [unrolled: 1-line block ×3, first 2 shown]
.LBB0_5:
	s_or_b32 exec_lo, exec_lo, s0
	s_waitcnt lgkmcnt(0)
	s_barrier
	buffer_gl0_inv
	ds_read_b128 v[116:119], v234
	ds_read_b128 v[76:79], v234 offset:2160
	ds_read_b128 v[176:179], v234 offset:14400
	ds_read_b128 v[144:147], v234 offset:16560
	ds_read_b128 v[184:187], v234 offset:7200
	ds_read_b128 v[112:115], v234 offset:4320
	ds_read_b128 v[180:183], v234 offset:9360
	ds_read_b128 v[148:151], v234 offset:11520
	ds_read_b128 v[172:175], v234 offset:18720
	s_and_saveexec_b32 s0, vcc_lo
	s_cbranch_execz .LBB0_7
; %bb.6:
	ds_read_b128 v[72:75], v234 offset:6480
	ds_read_b128 v[124:127], v234 offset:13680
	;; [unrolled: 1-line block ×3, first 2 shown]
.LBB0_7:
	s_or_b32 exec_lo, exec_lo, s0
	v_mov_b32_e32 v86, 0xda75
	v_add_co_u32 v81, s0, v233, -15
	v_lshlrev_b32_e32 v80, 5, v233
	v_add_co_ci_u32_e64 v82, null, 0, -1, s0
	v_mul_u32_u24_sdwa v84, v190, v86 dst_sel:DWORD dst_unused:UNUSED_PAD src0_sel:WORD_0 src1_sel:DWORD
	v_cmp_gt_u16_e64 s0, 15, v233
	v_add_co_u32 v201, s1, s14, v80
	v_mul_u32_u24_sdwa v86, v189, v86 dst_sel:DWORD dst_unused:UNUSED_PAD src0_sel:WORD_0 src1_sel:DWORD
	v_lshrrev_b32_e32 v195, 22, v84
	v_cndmask_b32_e64 v193, v82, v188, s0
	v_cndmask_b32_e64 v192, v81, v198, s0
	v_add_co_ci_u32_e64 v202, null, s15, 0, s1
	v_mul_lo_u16 v87, 0x96, v195
	v_add_co_u32 v80, s0, 0x910, v201
	v_lshlrev_b64 v[82:83], 5, v[192:193]
	v_lshrrev_b32_e32 v88, 22, v86
	v_add_co_ci_u32_e64 v81, s0, 0, v202, s0
	v_sub_nc_u16 v231, v196, v87
	v_add_co_u32 v84, s0, 0x800, v201
	v_add_co_ci_u32_e64 v85, s0, 0, v202, s0
	v_mul_lo_u16 v88, 0x96, v88
	v_add_co_u32 v82, s0, s14, v82
	v_lshlrev_b16 v96, 5, v231
	v_add_co_ci_u32_e64 v83, s0, s15, v83, s0
	v_sub_nc_u16 v237, v199, v88
	v_add_co_u32 v86, s0, 0x910, v82
	v_and_b32_e32 v96, 0xffff, v96
	v_add_co_ci_u32_e64 v87, s0, 0, v83, s0
	v_add_co_u32 v82, s0, 0x800, v82
	v_lshlrev_b16 v97, 5, v237
	v_add_co_ci_u32_e64 v83, s0, 0, v83, s0
	v_add_co_u32 v96, s0, s14, v96
	v_add_co_ci_u32_e64 v98, null, s15, 0, s0
	v_and_b32_e32 v97, 0xffff, v97
	v_add_co_u32 v100, s0, 0x910, v96
	v_add_co_ci_u32_e64 v101, s0, 0, v98, s0
	v_add_co_u32 v99, s0, s14, v97
	v_add_co_ci_u32_e64 v102, null, s15, 0, s0
	v_add_co_u32 v96, s0, 0x800, v96
	v_add_co_ci_u32_e64 v97, s0, 0, v98, s0
	v_add_co_u32 v108, s0, 0x910, v99
	v_add_co_ci_u32_e64 v109, s0, 0, v102, s0
	;; [unrolled: 2-line block ×3, first 2 shown]
	s_clause 0x7
	global_load_dwordx4 v[92:95], v[84:85], off offset:272
	global_load_dwordx4 v[88:91], v[80:81], off offset:16
	;; [unrolled: 1-line block ×8, first 2 shown]
	s_mov_b32 s0, 0xe8584caa
	s_mov_b32 s1, 0x3febb67a
	;; [unrolled: 1-line block ×3, first 2 shown]
	s_waitcnt vmcnt(0) lgkmcnt(0)
	s_barrier
	buffer_gl0_inv
	v_mul_f64 v[188:189], v[186:187], v[94:95]
	v_mul_f64 v[190:191], v[178:179], v[90:91]
	;; [unrolled: 1-line block ×16, first 2 shown]
	v_fma_f64 v[184:185], v[184:185], v[92:93], -v[188:189]
	v_fma_f64 v[176:177], v[176:177], v[88:89], -v[190:191]
	v_fma_f64 v[186:187], v[186:187], v[92:93], v[193:194]
	v_fma_f64 v[178:179], v[178:179], v[88:89], v[203:204]
	v_fma_f64 v[124:125], v[124:125], v[104:105], -v[221:222]
	v_fma_f64 v[188:189], v[128:129], v[108:109], -v[223:224]
	v_fma_f64 v[126:127], v[126:127], v[104:105], v[225:226]
	v_fma_f64 v[190:191], v[130:131], v[108:109], v[227:228]
	;; [unrolled: 4-line block ×4, first 2 shown]
	v_add_f64 v[203:204], v[116:117], v[184:185]
	v_add_f64 v[128:129], v[184:185], v[176:177]
	v_add_f64 v[184:185], v[184:185], -v[176:177]
	v_add_f64 v[130:131], v[186:187], v[178:179]
	v_add_f64 v[211:212], v[186:187], -v[178:179]
	v_add_f64 v[213:214], v[124:125], v[188:189]
	v_add_f64 v[186:187], v[118:119], v[186:187]
	;; [unrolled: 1-line block ×7, first 2 shown]
	v_add_f64 v[221:222], v[182:183], -v[146:147]
	v_add_f64 v[207:208], v[148:149], v[172:173]
	v_add_f64 v[223:224], v[180:181], -v[144:145]
	v_add_f64 v[209:210], v[150:151], v[174:175]
	v_add_f64 v[180:181], v[112:113], v[148:149]
	;; [unrolled: 1-line block ×5, first 2 shown]
	v_add_f64 v[229:230], v[126:127], -v[190:191]
	v_fma_f64 v[128:129], v[128:129], -0.5, v[116:117]
	v_fma_f64 v[130:131], v[130:131], -0.5, v[118:119]
	v_fma_f64 v[72:73], v[213:214], -0.5, v[72:73]
	v_add_f64 v[213:214], v[124:125], -v[188:189]
	v_fma_f64 v[74:75], v[215:216], -0.5, v[74:75]
	v_fma_f64 v[193:194], v[193:194], -0.5, v[76:77]
	v_add_f64 v[76:77], v[203:204], v[176:177]
	v_fma_f64 v[176:177], v[205:206], -0.5, v[78:79]
	v_add_f64 v[203:204], v[150:151], -v[174:175]
	v_fma_f64 v[205:206], v[207:208], -0.5, v[112:113]
	v_add_f64 v[207:208], v[148:149], -v[172:173]
	v_fma_f64 v[209:210], v[209:210], -0.5, v[114:115]
	v_add_f64 v[78:79], v[186:187], v[178:179]
	v_add_f64 v[112:113], v[217:218], v[144:145]
	v_add_f64 v[114:115], v[219:220], v[146:147]
	v_fma_f64 v[116:117], v[211:212], s[0:1], v[128:129]
	v_fma_f64 v[124:125], v[211:212], s[4:5], v[128:129]
	v_fma_f64 v[118:119], v[184:185], s[4:5], v[130:131]
	v_fma_f64 v[126:127], v[184:185], s[0:1], v[130:131]
	v_add_f64 v[128:129], v[180:181], v[172:173]
	v_add_f64 v[130:131], v[182:183], v[174:175]
	;; [unrolled: 1-line block ×4, first 2 shown]
	v_fma_f64 v[188:189], v[229:230], s[0:1], v[72:73]
	v_fma_f64 v[184:185], v[229:230], s[4:5], v[72:73]
	;; [unrolled: 1-line block ×11, first 2 shown]
	v_cmp_lt_u16_e64 s0, 14, v233
	v_fma_f64 v[176:177], v[203:204], s[4:5], v[205:206]
	v_mov_b32_e32 v72, 4
	v_mad_u16 v74, 0x1c2, v195, v231
	v_cndmask_b32_e64 v73, 0, 0x1c2, s0
	v_lshlrev_b32_sdwa v241, v72, v74 dst_sel:DWORD dst_unused:UNUSED_PAD src0_sel:DWORD src1_sel:WORD_0
	v_add_lshl_u32 v242, v192, v73, 4
	ds_write_b128 v234, v[76:79]
	ds_write_b128 v234, v[116:119] offset:2400
	ds_write_b128 v234, v[124:127] offset:4800
	ds_write_b128 v242, v[112:115]
	ds_write_b128 v242, v[144:147] offset:2400
	ds_write_b128 v242, v[148:151] offset:4800
	;; [unrolled: 3-line block ×3, first 2 shown]
	s_and_saveexec_b32 s0, vcc_lo
	s_cbranch_execz .LBB0_9
; %bb.8:
	v_lshlrev_b32_sdwa v72, v72, v237 dst_sel:DWORD dst_unused:UNUSED_PAD src0_sel:DWORD src1_sel:WORD_0
	ds_write_b128 v72, v[180:183] offset:14400
	ds_write_b128 v72, v[188:191] offset:16800
	ds_write_b128 v72, v[184:187] offset:19200
.LBB0_9:
	s_or_b32 exec_lo, exec_lo, s0
	s_waitcnt lgkmcnt(0)
	s_barrier
	buffer_gl0_inv
	ds_read_b128 v[192:195], v234
	ds_read_b128 v[176:179], v234 offset:2160
	ds_read_b128 v[124:127], v234 offset:14400
	;; [unrolled: 1-line block ×8, first 2 shown]
	s_and_saveexec_b32 s0, vcc_lo
	s_cbranch_execz .LBB0_11
; %bb.10:
	ds_read_b128 v[180:183], v234 offset:6480
	ds_read_b128 v[188:191], v234 offset:13680
	;; [unrolled: 1-line block ×3, first 2 shown]
.LBB0_11:
	s_or_b32 exec_lo, exec_lo, s0
	v_add_co_u32 v72, s0, 0x1800, v201
	v_add_co_ci_u32_e64 v73, s0, 0, v202, s0
	v_add_co_u32 v76, s0, 0x1bd0, v201
	v_add_co_ci_u32_e64 v77, s0, 0, v202, s0
	s_clause 0x1
	global_load_dwordx4 v[72:75], v[72:73], off offset:976
	global_load_dwordx4 v[76:79], v[76:77], off offset:16
	s_waitcnt vmcnt(1) lgkmcnt(4)
	v_mul_f64 v[201:202], v[130:131], v[74:75]
	v_fma_f64 v[201:202], v[128:129], v[72:73], -v[201:202]
	v_mul_f64 v[128:129], v[128:129], v[74:75]
	v_fma_f64 v[203:204], v[130:131], v[72:73], v[128:129]
	s_waitcnt vmcnt(0)
	v_mul_f64 v[128:129], v[126:127], v[78:79]
	v_fma_f64 v[205:206], v[124:125], v[76:77], -v[128:129]
	v_mul_f64 v[124:125], v[124:125], v[78:79]
	v_fma_f64 v[207:208], v[126:127], v[76:77], v[124:125]
	v_lshlrev_b32_e32 v124, 5, v198
	v_add_co_u32 v126, s0, s14, v124
	v_add_co_ci_u32_e64 v127, null, s15, 0, s0
	v_add_co_u32 v124, s0, 0x1800, v126
	v_add_co_ci_u32_e64 v125, s0, 0, v127, s0
	v_add_co_u32 v128, s0, 0x1bd0, v126
	v_add_co_ci_u32_e64 v129, s0, 0, v127, s0
	s_clause 0x1
	global_load_dwordx4 v[124:127], v[124:125], off offset:976
	global_load_dwordx4 v[128:131], v[128:129], off offset:16
	s_waitcnt vmcnt(1) lgkmcnt(2)
	v_mul_f64 v[209:210], v[150:151], v[126:127]
	v_fma_f64 v[210:211], v[148:149], v[124:125], -v[209:210]
	v_mul_f64 v[148:149], v[148:149], v[126:127]
	v_fma_f64 v[212:213], v[150:151], v[124:125], v[148:149]
	s_waitcnt vmcnt(0)
	v_mul_f64 v[148:149], v[146:147], v[130:131]
	v_fma_f64 v[214:215], v[144:145], v[128:129], -v[148:149]
	v_mul_f64 v[144:145], v[144:145], v[130:131]
	v_fma_f64 v[216:217], v[146:147], v[128:129], v[144:145]
	v_lshlrev_b64 v[144:145], 5, v[196:197]
	v_add_co_u32 v146, s0, s14, v144
	v_add_co_ci_u32_e64 v147, s0, s15, v145, s0
	v_add_co_u32 v144, s0, 0x1800, v146
	v_add_co_ci_u32_e64 v145, s0, 0, v147, s0
	;; [unrolled: 2-line block ×3, first 2 shown]
	s_clause 0x1
	global_load_dwordx4 v[144:147], v[144:145], off offset:976
	global_load_dwordx4 v[148:151], v[148:149], off offset:16
	s_waitcnt vmcnt(1) lgkmcnt(1)
	v_mul_f64 v[196:197], v[118:119], v[146:147]
	v_fma_f64 v[222:223], v[116:117], v[144:145], -v[196:197]
	v_mul_f64 v[116:117], v[116:117], v[146:147]
	v_fma_f64 v[218:219], v[118:119], v[144:145], v[116:117]
	s_waitcnt vmcnt(0) lgkmcnt(0)
	v_mul_f64 v[116:117], v[114:115], v[150:151]
	v_fma_f64 v[224:225], v[112:113], v[148:149], -v[116:117]
	v_mul_f64 v[112:113], v[112:113], v[150:151]
	v_fma_f64 v[220:221], v[114:115], v[148:149], v[112:113]
	v_add_co_u32 v112, s0, 0xffffffd3, v233
	v_add_co_ci_u32_e64 v113, null, 0, -1, s0
	v_cndmask_b32_e32 v112, v112, v199, vcc_lo
	v_add_f64 v[198:199], v[203:204], v[207:208]
	v_cndmask_b32_e32 v113, v113, v200, vcc_lo
	v_lshlrev_b64 v[112:113], 5, v[112:113]
	v_add_co_u32 v114, s0, s14, v112
	v_add_co_ci_u32_e64 v115, s0, s15, v113, s0
	v_add_co_u32 v112, s0, 0x1800, v114
	v_add_co_ci_u32_e64 v113, s0, 0, v115, s0
	;; [unrolled: 2-line block ×3, first 2 shown]
	s_clause 0x1
	global_load_dwordx4 v[112:115], v[112:113], off offset:976
	global_load_dwordx4 v[116:119], v[116:117], off offset:16
	v_fma_f64 v[226:227], v[198:199], -0.5, v[194:195]
	v_add_f64 v[194:195], v[194:195], v[203:204]
	v_add_f64 v[203:204], v[203:204], -v[207:208]
	s_mov_b32 s0, 0xe8584caa
	s_mov_b32 s1, 0x3febb67a
	s_mov_b32 s4, s0
	v_add_f64 v[194:195], v[194:195], v[207:208]
	s_waitcnt vmcnt(1)
	v_mul_f64 v[196:197], v[190:191], v[114:115]
	v_fma_f64 v[196:197], v[188:189], v[112:113], -v[196:197]
	v_mul_f64 v[188:189], v[188:189], v[114:115]
	v_fma_f64 v[190:191], v[190:191], v[112:113], v[188:189]
	s_waitcnt vmcnt(0)
	v_mul_f64 v[188:189], v[186:187], v[118:119]
	v_fma_f64 v[188:189], v[184:185], v[116:117], -v[188:189]
	v_mul_f64 v[184:185], v[184:185], v[118:119]
	v_fma_f64 v[184:185], v[186:187], v[116:117], v[184:185]
	v_add_f64 v[186:187], v[201:202], v[205:206]
	v_fma_f64 v[186:187], v[186:187], -0.5, v[192:193]
	v_add_f64 v[192:193], v[192:193], v[201:202]
	v_fma_f64 v[198:199], v[203:204], s[0:1], v[186:187]
	v_add_f64 v[192:193], v[192:193], v[205:206]
	v_add_f64 v[205:206], v[201:202], -v[205:206]
	v_fma_f64 v[202:203], v[203:204], s[4:5], v[186:187]
	v_add_f64 v[186:187], v[210:211], v[214:215]
	v_fma_f64 v[200:201], v[205:206], s[4:5], v[226:227]
	v_fma_f64 v[204:205], v[205:206], s[0:1], v[226:227]
	v_fma_f64 v[186:187], v[186:187], -0.5, v[176:177]
	v_add_f64 v[206:207], v[212:213], v[216:217]
	v_add_f64 v[176:177], v[176:177], v[210:211]
	v_fma_f64 v[226:227], v[206:207], -0.5, v[178:179]
	v_add_f64 v[178:179], v[178:179], v[212:213]
	v_add_f64 v[212:213], v[212:213], -v[216:217]
	v_add_f64 v[206:207], v[176:177], v[214:215]
	v_add_f64 v[176:177], v[210:211], -v[214:215]
	v_add_f64 v[208:209], v[178:179], v[216:217]
	v_fma_f64 v[210:211], v[212:213], s[0:1], v[186:187]
	v_fma_f64 v[214:215], v[212:213], s[4:5], v[186:187]
	;; [unrolled: 1-line block ×4, first 2 shown]
	v_add_f64 v[176:177], v[222:223], v[224:225]
	v_add_f64 v[178:179], v[218:219], v[220:221]
	v_add_f64 v[186:187], v[218:219], -v[220:221]
	v_fma_f64 v[176:177], v[176:177], -0.5, v[172:173]
	v_add_f64 v[172:173], v[172:173], v[222:223]
	v_fma_f64 v[178:179], v[178:179], -0.5, v[174:175]
	v_add_f64 v[174:175], v[174:175], v[218:219]
	v_fma_f64 v[226:227], v[186:187], s[4:5], v[176:177]
	v_add_f64 v[218:219], v[172:173], v[224:225]
	v_add_f64 v[172:173], v[222:223], -v[224:225]
	v_add_f64 v[220:221], v[174:175], v[220:221]
	v_fma_f64 v[222:223], v[186:187], s[0:1], v[176:177]
	v_add_f64 v[176:177], v[190:191], -v[184:185]
	v_add_f64 v[186:187], v[196:197], -v[188:189]
	v_fma_f64 v[224:225], v[172:173], s[4:5], v[178:179]
	v_fma_f64 v[228:229], v[172:173], s[0:1], v[178:179]
	v_add_f64 v[172:173], v[196:197], v[188:189]
	ds_write_b128 v234, v[192:195]
	ds_write_b128 v234, v[198:201] offset:7200
	ds_write_b128 v234, v[202:205] offset:14400
	;; [unrolled: 1-line block ×8, first 2 shown]
	v_fma_f64 v[174:175], v[172:173], -0.5, v[180:181]
	v_add_f64 v[172:173], v[190:191], v[184:185]
	v_fma_f64 v[178:179], v[172:173], -0.5, v[182:183]
	v_fma_f64 v[172:173], v[176:177], s[0:1], v[174:175]
	v_fma_f64 v[176:177], v[176:177], s[4:5], v[174:175]
	;; [unrolled: 1-line block ×4, first 2 shown]
	s_and_saveexec_b32 s0, vcc_lo
	s_cbranch_execz .LBB0_13
; %bb.12:
	v_add_f64 v[182:183], v[182:183], v[190:191]
	v_add_f64 v[180:181], v[180:181], v[196:197]
	;; [unrolled: 1-line block ×4, first 2 shown]
	ds_write_b128 v234, v[172:175] offset:13680
	ds_write_b128 v234, v[180:183] offset:6480
	;; [unrolled: 1-line block ×3, first 2 shown]
.LBB0_13:
	s_or_b32 exec_lo, exec_lo, s0
	v_lshlrev_b32_e32 v180, 4, v233
	s_waitcnt lgkmcnt(0)
	s_barrier
	buffer_gl0_inv
	ds_read_b128 v[182:185], v234
	v_add_co_u32 v180, s0, s12, v180
	v_add_co_ci_u32_e64 v181, null, s13, 0, s0
	s_mov_b32 s14, 0x134454ff
	v_add_co_u32 v186, s0, 0x5000, v180
	v_add_co_ci_u32_e64 v187, s0, 0, v181, s0
	s_mov_b32 s15, 0xbfee6f0e
	s_mov_b32 s12, 0x4755a5e
	;; [unrolled: 1-line block ×3, first 2 shown]
	global_load_dwordx4 v[186:189], v[186:187], off offset:1120
	s_mov_b32 s6, 0x372fe950
	s_mov_b32 s7, 0x3fd3c6ef
	;; [unrolled: 1-line block ×7, first 2 shown]
	s_waitcnt vmcnt(0) lgkmcnt(0)
	v_mul_f64 v[190:191], v[184:185], v[188:189]
	v_fma_f64 v[190:191], v[182:183], v[186:187], -v[190:191]
	v_mul_f64 v[182:183], v[182:183], v[188:189]
	v_fma_f64 v[192:193], v[184:185], v[186:187], v[182:183]
	v_add_co_u32 v186, s0, 0x6000, v180
	v_add_co_ci_u32_e64 v187, s0, 0, v181, s0
	ds_read_b128 v[182:185], v234 offset:4320
	global_load_dwordx4 v[186:189], v[186:187], off offset:1344
	ds_write_b128 v234, v[190:193]
	s_waitcnt vmcnt(0) lgkmcnt(1)
	v_mul_f64 v[190:191], v[184:185], v[188:189]
	v_fma_f64 v[190:191], v[182:183], v[186:187], -v[190:191]
	v_mul_f64 v[182:183], v[182:183], v[188:189]
	v_fma_f64 v[192:193], v[184:185], v[186:187], v[182:183]
	v_add_co_u32 v186, s0, 0x7000, v180
	v_add_co_ci_u32_e64 v187, s0, 0, v181, s0
	ds_read_b128 v[182:185], v234 offset:8640
	global_load_dwordx4 v[186:189], v[186:187], off offset:1568
	ds_write_b128 v234, v[190:193] offset:4320
	s_waitcnt vmcnt(0) lgkmcnt(1)
	v_mul_f64 v[190:191], v[184:185], v[188:189]
	v_fma_f64 v[190:191], v[182:183], v[186:187], -v[190:191]
	v_mul_f64 v[182:183], v[182:183], v[188:189]
	v_fma_f64 v[192:193], v[184:185], v[186:187], v[182:183]
	v_add_co_u32 v186, s0, 0x8000, v180
	v_add_co_ci_u32_e64 v187, s0, 0, v181, s0
	ds_read_b128 v[182:185], v234 offset:12960
	global_load_dwordx4 v[186:189], v[186:187], off offset:1792
	ds_write_b128 v234, v[190:193] offset:8640
	;; [unrolled: 10-line block ×6, first 2 shown]
	s_waitcnt vmcnt(0) lgkmcnt(1)
	v_mul_f64 v[190:191], v[184:185], v[188:189]
	v_fma_f64 v[190:191], v[182:183], v[186:187], -v[190:191]
	v_mul_f64 v[182:183], v[182:183], v[188:189]
	v_fma_f64 v[192:193], v[184:185], v[186:187], v[182:183]
	v_add_co_u32 v186, s0, 0x8800, v180
	v_add_co_ci_u32_e64 v187, s0, 0, v181, s0
	ds_read_b128 v[182:185], v234 offset:15120
	v_add_co_u32 v180, s0, 0xa000, v180
	global_load_dwordx4 v[186:189], v[186:187], off offset:1904
	v_add_co_ci_u32_e64 v181, s0, 0, v181, s0
	s_mov_b32 s0, s12
	ds_write_b128 v234, v[190:193] offset:10800
	s_waitcnt vmcnt(0) lgkmcnt(1)
	v_mul_f64 v[190:191], v[184:185], v[188:189]
	v_fma_f64 v[190:191], v[182:183], v[186:187], -v[190:191]
	v_mul_f64 v[182:183], v[182:183], v[188:189]
	v_fma_f64 v[192:193], v[184:185], v[186:187], v[182:183]
	global_load_dwordx4 v[186:189], v[180:181], off offset:80
	ds_read_b128 v[182:185], v234 offset:19440
	ds_write_b128 v234, v[190:193] offset:15120
	s_waitcnt vmcnt(0) lgkmcnt(1)
	v_mul_f64 v[180:181], v[184:185], v[188:189]
	v_fma_f64 v[180:181], v[182:183], v[186:187], -v[180:181]
	v_mul_f64 v[182:183], v[182:183], v[188:189]
	v_fma_f64 v[182:183], v[184:185], v[186:187], v[182:183]
	ds_write_b128 v234, v[180:183] offset:19440
	s_waitcnt lgkmcnt(0)
	s_barrier
	buffer_gl0_inv
	ds_read_b128 v[192:195], v234
	ds_read_b128 v[220:223], v234 offset:4320
	ds_read_b128 v[224:227], v234 offset:8640
	;; [unrolled: 1-line block ×9, first 2 shown]
	s_waitcnt lgkmcnt(0)
	s_barrier
	buffer_gl0_inv
	v_add_f64 v[180:181], v[192:193], v[220:221]
	v_add_f64 v[188:189], v[220:221], -v[224:225]
	v_add_f64 v[190:191], v[226:227], -v[230:231]
	;; [unrolled: 1-line block ×5, first 2 shown]
	v_add_f64 v[180:181], v[180:181], v[224:225]
	v_add_f64 v[196:197], v[188:189], v[196:197]
	;; [unrolled: 1-line block ×5, first 2 shown]
	v_fma_f64 v[180:181], v[180:181], -0.5, v[192:193]
	v_fma_f64 v[186:187], v[182:183], s[14:15], v[180:181]
	v_fma_f64 v[180:181], v[182:183], s[4:5], v[180:181]
	;; [unrolled: 1-line block ×5, first 2 shown]
	v_add_f64 v[186:187], v[220:221], v[245:246]
	v_fma_f64 v[180:181], v[196:197], s[6:7], v[180:181]
	v_add_f64 v[196:197], v[224:225], -v[220:221]
	v_add_f64 v[220:221], v[220:221], -v[245:246]
	;; [unrolled: 1-line block ×5, first 2 shown]
	v_fma_f64 v[186:187], v[186:187], -0.5, v[192:193]
	v_add_f64 v[198:199], v[196:197], v[198:199]
	v_fma_f64 v[192:193], v[190:191], s[4:5], v[186:187]
	v_fma_f64 v[186:187], v[190:191], s[14:15], v[186:187]
	;; [unrolled: 1-line block ×6, first 2 shown]
	v_add_f64 v[182:183], v[194:195], v[222:223]
	v_add_f64 v[198:199], v[222:223], -v[226:227]
	v_add_f64 v[182:183], v[182:183], v[226:227]
	v_add_f64 v[198:199], v[198:199], v[228:229]
	v_add_f64 v[228:229], v[208:209], -v[212:213]
	v_add_f64 v[182:183], v[182:183], v[230:231]
	v_add_f64 v[245:246], v[228:229], v[245:246]
	;; [unrolled: 1-line block ×4, first 2 shown]
	v_fma_f64 v[182:183], v[182:183], -0.5, v[194:195]
	v_fma_f64 v[190:191], v[220:221], s[4:5], v[182:183]
	v_fma_f64 v[182:183], v[220:221], s[14:15], v[182:183]
	;; [unrolled: 1-line block ×6, first 2 shown]
	v_add_f64 v[198:199], v[222:223], v[247:248]
	v_add_f64 v[222:223], v[226:227], -v[222:223]
	v_add_f64 v[226:227], v[230:231], -v[247:248]
	;; [unrolled: 1-line block ×4, first 2 shown]
	v_fma_f64 v[194:195], v[198:199], -0.5, v[194:195]
	v_add_f64 v[222:223], v[222:223], v[226:227]
	v_fma_f64 v[198:199], v[224:225], s[14:15], v[194:195]
	v_fma_f64 v[194:195], v[224:225], s[4:5], v[194:195]
	;; [unrolled: 1-line block ×4, first 2 shown]
	v_add_f64 v[220:221], v[216:217], v[208:209]
	v_fma_f64 v[198:199], v[222:223], s[6:7], v[198:199]
	v_fma_f64 v[194:195], v[222:223], s[6:7], v[194:195]
	v_add_f64 v[220:221], v[220:221], v[212:213]
	v_add_f64 v[222:223], v[210:211], -v[206:207]
	v_add_f64 v[220:221], v[220:221], v[200:201]
	v_add_f64 v[224:225], v[220:221], v[204:205]
	;; [unrolled: 1-line block ×3, first 2 shown]
	v_add_f64 v[200:201], v[212:213], -v[200:201]
	v_fma_f64 v[220:221], v[220:221], -0.5, v[216:217]
	v_fma_f64 v[226:227], v[222:223], s[14:15], v[220:221]
	v_fma_f64 v[220:221], v[222:223], s[4:5], v[220:221]
	;; [unrolled: 1-line block ×5, first 2 shown]
	v_add_f64 v[226:227], v[208:209], v[204:205]
	v_fma_f64 v[220:221], v[245:246], s[6:7], v[220:221]
	v_add_f64 v[245:246], v[212:213], -v[208:209]
	v_add_f64 v[204:205], v[208:209], -v[204:205]
	;; [unrolled: 1-line block ×3, first 2 shown]
	v_fma_f64 v[226:227], v[226:227], -0.5, v[216:217]
	v_add_f64 v[245:246], v[245:246], v[247:248]
	v_fma_f64 v[216:217], v[230:231], s[4:5], v[226:227]
	v_fma_f64 v[226:227], v[230:231], s[14:15], v[226:227]
	v_add_f64 v[230:231], v[206:207], -v[202:203]
	v_fma_f64 v[216:217], v[222:223], s[12:13], v[216:217]
	v_fma_f64 v[222:223], v[222:223], s[0:1], v[226:227]
	v_add_f64 v[212:213], v[212:213], v[230:231]
	v_fma_f64 v[216:217], v[245:246], s[6:7], v[216:217]
	v_fma_f64 v[245:246], v[245:246], s[6:7], v[222:223]
	v_add_f64 v[222:223], v[218:219], v[210:211]
	v_add_f64 v[222:223], v[222:223], v[214:215]
	;; [unrolled: 1-line block ×5, first 2 shown]
	v_add_f64 v[202:203], v[202:203], -v[206:207]
	v_fma_f64 v[222:223], v[222:223], -0.5, v[218:219]
	v_fma_f64 v[208:209], v[204:205], s[4:5], v[222:223]
	v_fma_f64 v[208:209], v[200:201], s[0:1], v[208:209]
	v_fma_f64 v[230:231], v[212:213], s[6:7], v[208:209]
	v_fma_f64 v[208:209], v[204:205], s[14:15], v[222:223]
	v_fma_f64 v[208:209], v[200:201], s[12:13], v[208:209]
	v_fma_f64 v[222:223], v[212:213], s[6:7], v[208:209]
	v_add_f64 v[208:209], v[210:211], v[206:207]
	v_add_f64 v[210:211], v[214:215], -v[210:211]
	v_fma_f64 v[208:209], v[208:209], -0.5, v[218:219]
	v_add_f64 v[202:203], v[210:211], v[202:203]
	v_fma_f64 v[212:213], v[200:201], s[14:15], v[208:209]
	v_fma_f64 v[200:201], v[200:201], s[4:5], v[208:209]
	v_fma_f64 v[212:213], v[204:205], s[0:1], v[212:213]
	v_fma_f64 v[200:201], v[204:205], s[12:13], v[200:201]
	v_fma_f64 v[218:219], v[202:203], s[6:7], v[212:213]
	v_fma_f64 v[247:248], v[202:203], s[6:7], v[200:201]
	ds_write_b128 v244, v[184:187]
	ds_write_b128 v244, v[188:191] offset:16
	ds_write_b128 v244, v[196:199] offset:32
	;; [unrolled: 1-line block ×4, first 2 shown]
	ds_write_b128 v243, v[224:227]
	ds_write_b128 v243, v[228:231] offset:16
	ds_write_b128 v243, v[216:219] offset:32
	;; [unrolled: 1-line block ×4, first 2 shown]
	s_waitcnt lgkmcnt(0)
	s_barrier
	buffer_gl0_inv
	ds_read_b128 v[182:185], v234
	ds_read_b128 v[186:189], v234 offset:2160
	ds_read_b128 v[190:193], v234 offset:4320
	;; [unrolled: 1-line block ×9, first 2 shown]
	s_waitcnt lgkmcnt(0)
	s_barrier
	buffer_gl0_inv
	v_mul_f64 v[180:181], v[170:171], v[188:189]
	v_mul_f64 v[170:171], v[170:171], v[186:187]
	v_fma_f64 v[222:223], v[168:169], v[186:187], v[180:181]
	v_fma_f64 v[168:169], v[168:169], v[188:189], -v[170:171]
	v_mul_f64 v[170:171], v[166:167], v[192:193]
	v_mul_f64 v[166:167], v[166:167], v[190:191]
	v_fma_f64 v[186:187], v[164:165], v[190:191], v[170:171]
	v_fma_f64 v[164:165], v[164:165], v[192:193], -v[166:167]
	;; [unrolled: 4-line block ×4, first 2 shown]
	v_mul_f64 v[160:161], v[138:139], v[204:205]
	v_mul_f64 v[138:139], v[138:139], v[202:203]
	v_add_f64 v[162:163], v[152:153], -v[186:187]
	v_fma_f64 v[190:191], v[136:137], v[202:203], v[160:161]
	v_fma_f64 v[180:181], v[136:137], v[204:205], -v[138:139]
	v_mul_f64 v[136:137], v[158:159], v[208:209]
	v_fma_f64 v[138:139], v[156:157], v[206:207], v[136:137]
	v_mul_f64 v[136:137], v[158:159], v[206:207]
	v_fma_f64 v[156:157], v[156:157], v[208:209], -v[136:137]
	v_mul_f64 v[136:137], v[122:123], v[212:213]
	v_mul_f64 v[122:123], v[122:123], v[210:211]
	v_fma_f64 v[192:193], v[120:121], v[210:211], v[136:137]
	v_fma_f64 v[194:195], v[120:121], v[212:213], -v[122:123]
	v_mul_f64 v[120:121], v[142:143], v[216:217]
	v_add_f64 v[122:123], v[152:153], v[138:139]
	v_add_f64 v[136:137], v[154:155], -v[156:157]
	v_fma_f64 v[158:159], v[140:141], v[214:215], v[120:121]
	v_mul_f64 v[120:121], v[142:143], v[214:215]
	v_add_f64 v[142:143], v[158:159], -v[138:139]
	v_fma_f64 v[160:161], v[140:141], v[216:217], -v[120:121]
	v_mul_f64 v[120:121], v[134:135], v[220:221]
	v_add_f64 v[140:141], v[186:187], -v[152:153]
	v_add_f64 v[166:167], v[138:139], -v[158:159]
	v_fma_f64 v[196:197], v[132:133], v[218:219], v[120:121]
	v_mul_f64 v[120:121], v[134:135], v[218:219]
	v_add_f64 v[134:135], v[164:165], -v[160:161]
	v_add_f64 v[140:141], v[140:141], v[142:143]
	v_add_f64 v[162:163], v[162:163], v[166:167]
	v_add_f64 v[166:167], v[160:161], -v[156:157]
	v_fma_f64 v[198:199], v[132:133], v[220:221], -v[120:121]
	v_fma_f64 v[132:133], v[122:123], -0.5, v[182:183]
	v_add_f64 v[120:121], v[182:183], v[186:187]
	v_fma_f64 v[122:123], v[134:135], s[14:15], v[132:133]
	v_fma_f64 v[132:133], v[134:135], s[4:5], v[132:133]
	v_add_f64 v[120:121], v[120:121], v[152:153]
	v_add_f64 v[152:153], v[152:153], -v[138:139]
	v_fma_f64 v[122:123], v[136:137], s[12:13], v[122:123]
	v_fma_f64 v[132:133], v[136:137], s[0:1], v[132:133]
	v_add_f64 v[120:121], v[120:121], v[138:139]
	v_fma_f64 v[122:123], v[140:141], s[6:7], v[122:123]
	v_fma_f64 v[132:133], v[140:141], s[6:7], v[132:133]
	v_add_f64 v[140:141], v[186:187], v[158:159]
	v_add_f64 v[120:121], v[120:121], v[158:159]
	v_add_f64 v[158:159], v[186:187], -v[158:159]
	v_add_f64 v[186:187], v[192:193], -v[196:197]
	v_fma_f64 v[142:143], v[140:141], -0.5, v[182:183]
	v_add_f64 v[182:183], v[180:181], -v[194:195]
	v_fma_f64 v[140:141], v[136:137], s[4:5], v[142:143]
	v_fma_f64 v[136:137], v[136:137], s[14:15], v[142:143]
	;; [unrolled: 1-line block ×6, first 2 shown]
	v_add_f64 v[134:135], v[184:185], v[164:165]
	v_add_f64 v[134:135], v[134:135], v[154:155]
	;; [unrolled: 1-line block ×5, first 2 shown]
	v_add_f64 v[156:157], v[156:157], -v[160:161]
	v_fma_f64 v[134:135], v[134:135], -0.5, v[184:185]
	v_fma_f64 v[162:163], v[158:159], s[4:5], v[134:135]
	v_fma_f64 v[134:135], v[158:159], s[14:15], v[134:135]
	;; [unrolled: 1-line block ×3, first 2 shown]
	v_add_f64 v[162:163], v[164:165], -v[154:155]
	v_fma_f64 v[134:135], v[152:153], s[12:13], v[134:135]
	v_add_f64 v[154:155], v[154:155], -v[164:165]
	v_add_f64 v[162:163], v[162:163], v[166:167]
	v_add_f64 v[156:157], v[154:155], v[156:157]
	v_fma_f64 v[138:139], v[162:163], s[6:7], v[138:139]
	v_fma_f64 v[134:135], v[162:163], s[6:7], v[134:135]
	v_add_f64 v[162:163], v[164:165], v[160:161]
	v_add_f64 v[164:165], v[188:189], -v[190:191]
	v_fma_f64 v[162:163], v[162:163], -0.5, v[184:185]
	v_add_f64 v[184:185], v[190:191], -v[188:189]
	v_fma_f64 v[166:167], v[152:153], s[14:15], v[162:163]
	v_fma_f64 v[152:153], v[152:153], s[4:5], v[162:163]
	v_add_f64 v[162:163], v[170:171], -v[198:199]
	v_add_f64 v[184:185], v[184:185], v[186:187]
	v_fma_f64 v[166:167], v[158:159], s[0:1], v[166:167]
	v_fma_f64 v[152:153], v[158:159], s[12:13], v[152:153]
	v_add_f64 v[158:159], v[190:191], v[192:193]
	v_fma_f64 v[154:155], v[156:157], s[6:7], v[166:167]
	v_add_f64 v[166:167], v[196:197], -v[192:193]
	v_fma_f64 v[158:159], v[158:159], -0.5, v[222:223]
	v_fma_f64 v[152:153], v[156:157], s[6:7], v[152:153]
	v_add_f64 v[156:157], v[222:223], v[188:189]
	v_add_f64 v[166:167], v[164:165], v[166:167]
	v_fma_f64 v[160:161], v[162:163], s[14:15], v[158:159]
	v_fma_f64 v[158:159], v[162:163], s[4:5], v[158:159]
	v_add_f64 v[156:157], v[156:157], v[190:191]
	v_fma_f64 v[160:161], v[182:183], s[12:13], v[160:161]
	v_fma_f64 v[158:159], v[182:183], s[0:1], v[158:159]
	;; [unrolled: 3-line block ×3, first 2 shown]
	v_add_f64 v[158:159], v[188:189], v[196:197]
	v_add_f64 v[156:157], v[156:157], v[196:197]
	v_fma_f64 v[158:159], v[158:159], -0.5, v[222:223]
	v_fma_f64 v[166:167], v[182:183], s[4:5], v[158:159]
	v_fma_f64 v[158:159], v[182:183], s[14:15], v[158:159]
	v_add_f64 v[182:183], v[180:181], v[194:195]
	v_fma_f64 v[166:167], v[162:163], s[12:13], v[166:167]
	v_fma_f64 v[158:159], v[162:163], s[0:1], v[158:159]
	v_fma_f64 v[182:183], v[182:183], -0.5, v[168:169]
	v_fma_f64 v[166:167], v[184:185], s[6:7], v[166:167]
	v_fma_f64 v[162:163], v[184:185], s[6:7], v[158:159]
	v_add_f64 v[184:185], v[188:189], -v[196:197]
	v_add_f64 v[188:189], v[190:191], -v[192:193]
	;; [unrolled: 1-line block ×4, first 2 shown]
	v_add_f64 v[158:159], v[168:169], v[170:171]
	v_fma_f64 v[186:187], v[184:185], s[4:5], v[182:183]
	v_fma_f64 v[182:183], v[184:185], s[14:15], v[182:183]
	v_add_f64 v[190:191], v[190:191], v[192:193]
	v_add_f64 v[158:159], v[158:159], v[180:181]
	v_fma_f64 v[186:187], v[188:189], s[0:1], v[186:187]
	v_fma_f64 v[182:183], v[188:189], s[12:13], v[182:183]
	v_add_f64 v[158:159], v[158:159], v[194:195]
	v_fma_f64 v[186:187], v[190:191], s[6:7], v[186:187]
	v_fma_f64 v[196:197], v[190:191], s[6:7], v[182:183]
	v_add_f64 v[182:183], v[170:171], v[198:199]
	v_add_f64 v[170:171], v[180:181], -v[170:171]
	v_add_f64 v[180:181], v[194:195], -v[198:199]
	v_add_f64 v[158:159], v[158:159], v[198:199]
	v_fma_f64 v[168:169], v[182:183], -0.5, v[168:169]
	v_add_f64 v[170:171], v[170:171], v[180:181]
	v_fma_f64 v[182:183], v[188:189], s[14:15], v[168:169]
	v_fma_f64 v[168:169], v[188:189], s[4:5], v[168:169]
	;; [unrolled: 1-line block ×6, first 2 shown]
	v_mul_f64 v[170:171], v[186:187], s[12:13]
	v_mul_f64 v[182:183], v[186:187], s[16:17]
	v_add_f64 v[168:169], v[120:121], v[156:157]
	v_add_f64 v[156:157], v[120:121], -v[156:157]
	v_fma_f64 v[198:199], v[164:165], s[16:17], v[170:171]
	v_mul_f64 v[170:171], v[190:191], s[14:15]
	v_fma_f64 v[206:207], v[164:165], s[0:1], v[182:183]
	v_mul_f64 v[164:165], v[190:191], s[6:7]
	v_add_f64 v[180:181], v[122:123], v[198:199]
	v_fma_f64 v[200:201], v[166:167], s[6:7], v[170:171]
	v_mul_f64 v[170:171], v[194:195], s[14:15]
	s_mov_b32 s15, 0xbfd3c6ef
	s_mov_b32 s14, s6
	v_fma_f64 v[166:167], v[166:167], s[4:5], v[164:165]
	v_mul_f64 v[164:165], v[194:195], s[14:15]
	v_add_f64 v[182:183], v[138:139], v[206:207]
	v_add_f64 v[184:185], v[140:141], v[200:201]
	v_fma_f64 v[202:203], v[162:163], s[14:15], v[170:171]
	v_mul_f64 v[170:171], v[196:197], s[12:13]
	s_mov_b32 s13, 0xbfe9e377
	s_mov_b32 s12, s16
	v_fma_f64 v[208:209], v[162:163], s[4:5], v[164:165]
	v_mul_f64 v[162:163], v[196:197], s[12:13]
	v_add_f64 v[186:187], v[154:155], v[166:167]
	v_add_f64 v[140:141], v[140:141], -v[200:201]
	v_add_f64 v[188:189], v[142:143], v[202:203]
	v_fma_f64 v[204:205], v[160:161], s[12:13], v[170:171]
	v_add_f64 v[170:171], v[136:137], v[158:159]
	v_add_f64 v[158:159], v[136:137], -v[158:159]
	v_add_f64 v[190:191], v[152:153], v[208:209]
	v_fma_f64 v[196:197], v[160:161], s[0:1], v[162:163]
	v_add_f64 v[160:161], v[122:123], -v[198:199]
	v_add_f64 v[162:163], v[138:139], -v[206:207]
	;; [unrolled: 1-line block ×5, first 2 shown]
	v_add_f64 v[192:193], v[132:133], v[204:205]
	v_add_f64 v[120:121], v[132:133], -v[204:205]
	v_add_f64 v[194:195], v[134:135], v[196:197]
	v_add_f64 v[122:123], v[134:135], -v[196:197]
	ds_write_b128 v236, v[168:171]
	ds_write_b128 v236, v[180:183] offset:80
	ds_write_b128 v236, v[184:187] offset:160
	;; [unrolled: 1-line block ×9, first 2 shown]
	s_waitcnt lgkmcnt(0)
	s_barrier
	buffer_gl0_inv
	ds_read_b128 v[132:135], v234
	ds_read_b128 v[156:159], v234 offset:7200
	ds_read_b128 v[152:155], v234 offset:14400
	;; [unrolled: 1-line block ×8, first 2 shown]
	s_and_saveexec_b32 s0, vcc_lo
	s_cbranch_execz .LBB0_15
; %bb.14:
	ds_read_b128 v[120:123], v234 offset:6480
	ds_read_b128 v[172:175], v234 offset:13680
	;; [unrolled: 1-line block ×3, first 2 shown]
.LBB0_15:
	s_or_b32 exec_lo, exec_lo, s0
	s_waitcnt lgkmcnt(7)
	v_mul_f64 v[184:185], v[50:51], v[158:159]
	v_mul_f64 v[50:51], v[50:51], v[156:157]
	s_waitcnt lgkmcnt(6)
	v_mul_f64 v[186:187], v[42:43], v[154:155]
	v_mul_f64 v[42:43], v[42:43], v[152:153]
	s_waitcnt lgkmcnt(4)
	v_mul_f64 v[188:189], v[54:55], v[162:163]
	s_waitcnt lgkmcnt(3)
	v_mul_f64 v[190:191], v[46:47], v[166:167]
	v_mul_f64 v[54:55], v[54:55], v[160:161]
	;; [unrolled: 1-line block ×3, first 2 shown]
	s_waitcnt lgkmcnt(1)
	v_mul_f64 v[192:193], v[62:63], v[170:171]
	s_waitcnt lgkmcnt(0)
	v_mul_f64 v[194:195], v[58:59], v[182:183]
	v_mul_f64 v[62:63], v[62:63], v[168:169]
	;; [unrolled: 1-line block ×7, first 2 shown]
	s_mov_b32 s0, 0xe8584caa
	s_mov_b32 s1, 0xbfebb67a
	s_mov_b32 s5, 0x3febb67a
	s_mov_b32 s4, s0
	s_barrier
	v_fma_f64 v[156:157], v[48:49], v[156:157], v[184:185]
	v_fma_f64 v[48:49], v[48:49], v[158:159], -v[50:51]
	v_fma_f64 v[50:51], v[40:41], v[152:153], v[186:187]
	v_fma_f64 v[40:41], v[40:41], v[154:155], -v[42:43]
	v_fma_f64 v[42:43], v[52:53], v[160:161], v[188:189]
	v_fma_f64 v[152:153], v[44:45], v[164:165], v[190:191]
	v_fma_f64 v[52:53], v[52:53], v[162:163], -v[54:55]
	v_fma_f64 v[54:55], v[44:45], v[166:167], -v[46:47]
	v_fma_f64 v[44:45], v[60:61], v[168:169], v[192:193]
	v_fma_f64 v[154:155], v[56:57], v[180:181], v[194:195]
	v_fma_f64 v[46:47], v[60:61], v[170:171], -v[62:63]
	;; [unrolled: 4-line block ×3, first 2 shown]
	v_fma_f64 v[64:65], v[64:65], v[178:179], -v[66:67]
	buffer_gl0_inv
	v_add_f64 v[162:163], v[132:133], v[156:157]
	v_add_f64 v[66:67], v[156:157], v[50:51]
	;; [unrolled: 1-line block ×3, first 2 shown]
	v_add_f64 v[166:167], v[48:49], -v[40:41]
	v_add_f64 v[70:71], v[42:43], v[152:153]
	v_add_f64 v[48:49], v[134:135], v[48:49]
	;; [unrolled: 1-line block ×12, first 2 shown]
	v_add_f64 v[62:63], v[62:63], -v[64:65]
	v_add_f64 v[156:157], v[156:157], -v[50:51]
	v_add_f64 v[172:173], v[136:137], v[42:43]
	v_add_f64 v[184:185], v[42:43], -v[152:153]
	v_add_f64 v[186:187], v[46:47], -v[56:57]
	v_fma_f64 v[66:67], v[66:67], -0.5, v[132:133]
	v_fma_f64 v[134:135], v[68:69], -0.5, v[134:135]
	v_add_f64 v[132:133], v[52:53], -v[54:55]
	v_fma_f64 v[136:137], v[70:71], -0.5, v[136:137]
	v_add_f64 v[46:47], v[48:49], v[40:41]
	v_fma_f64 v[138:139], v[158:159], -0.5, v[138:139]
	v_add_f64 v[158:159], v[44:45], -v[154:155]
	v_fma_f64 v[140:141], v[160:161], -0.5, v[140:141]
	v_add_f64 v[160:161], v[58:59], -v[60:61]
	v_add_f64 v[44:45], v[162:163], v[50:51]
	v_fma_f64 v[142:143], v[164:165], -0.5, v[142:143]
	v_fma_f64 v[58:59], v[168:169], -0.5, v[120:121]
	v_add_f64 v[50:51], v[174:175], v[54:55]
	v_fma_f64 v[162:163], v[170:171], -0.5, v[122:123]
	v_add_f64 v[54:55], v[178:179], v[56:57]
	v_add_f64 v[40:41], v[180:181], v[60:61]
	;; [unrolled: 1-line block ×5, first 2 shown]
	v_fma_f64 v[64:65], v[166:167], s[0:1], v[66:67]
	v_fma_f64 v[68:69], v[166:167], s[4:5], v[66:67]
	;; [unrolled: 1-line block ×16, first 2 shown]
	ds_write_b128 v240, v[44:47]
	ds_write_b128 v240, v[64:67] offset:800
	ds_write_b128 v240, v[68:71] offset:1600
	ds_write_b128 v239, v[48:51]
	ds_write_b128 v239, v[120:123] offset:800
	ds_write_b128 v239, v[132:135] offset:1600
	;; [unrolled: 3-line block ×3, first 2 shown]
	s_and_saveexec_b32 s0, vcc_lo
	s_cbranch_execz .LBB0_17
; %bb.16:
	v_mov_b32_e32 v44, 4
	v_lshlrev_b32_sdwa v44, v44, v235 dst_sel:DWORD dst_unused:UNUSED_PAD src0_sel:DWORD src1_sel:WORD_0
	ds_write_b128 v44, v[40:43] offset:19200
	ds_write_b128 v44, v[56:59] offset:20000
	;; [unrolled: 1-line block ×3, first 2 shown]
.LBB0_17:
	s_or_b32 exec_lo, exec_lo, s0
	s_waitcnt lgkmcnt(0)
	s_barrier
	buffer_gl0_inv
	ds_read_b128 v[48:51], v234
	ds_read_b128 v[44:47], v234 offset:2160
	ds_read_b128 v[132:135], v234 offset:14400
	;; [unrolled: 1-line block ×8, first 2 shown]
	s_and_saveexec_b32 s0, vcc_lo
	s_cbranch_execz .LBB0_19
; %bb.18:
	ds_read_b128 v[40:43], v234 offset:6480
	ds_read_b128 v[56:59], v234 offset:13680
	;; [unrolled: 1-line block ×3, first 2 shown]
.LBB0_19:
	s_or_b32 exec_lo, exec_lo, s0
	s_waitcnt lgkmcnt(4)
	v_mul_f64 v[152:153], v[94:95], v[142:143]
	v_mul_f64 v[94:95], v[94:95], v[140:141]
	;; [unrolled: 1-line block ×4, first 2 shown]
	s_waitcnt lgkmcnt(2)
	v_mul_f64 v[156:157], v[82:83], v[138:139]
	v_mul_f64 v[158:159], v[86:87], v[66:67]
	;; [unrolled: 1-line block ×4, first 2 shown]
	s_waitcnt lgkmcnt(1)
	v_mul_f64 v[160:161], v[98:99], v[70:71]
	s_waitcnt lgkmcnt(0)
	v_mul_f64 v[162:163], v[102:103], v[122:123]
	v_mul_f64 v[98:99], v[98:99], v[68:69]
	;; [unrolled: 1-line block ×7, first 2 shown]
	s_mov_b32 s0, 0xe8584caa
	s_mov_b32 s1, 0xbfebb67a
	;; [unrolled: 1-line block ×3, first 2 shown]
	s_barrier
	buffer_gl0_inv
	v_fma_f64 v[140:141], v[92:93], v[140:141], v[152:153]
	v_fma_f64 v[92:93], v[92:93], v[142:143], -v[94:95]
	v_fma_f64 v[94:95], v[88:89], v[132:133], v[154:155]
	v_fma_f64 v[88:89], v[88:89], v[134:135], -v[90:91]
	v_fma_f64 v[90:91], v[80:81], v[136:137], v[156:157]
	v_fma_f64 v[64:65], v[84:85], v[64:65], v[158:159]
	v_fma_f64 v[80:81], v[80:81], v[138:139], -v[82:83]
	v_fma_f64 v[66:67], v[84:85], v[66:67], -v[86:87]
	v_fma_f64 v[68:69], v[96:97], v[68:69], v[160:161]
	v_fma_f64 v[82:83], v[100:101], v[120:121], v[162:163]
	v_fma_f64 v[70:71], v[96:97], v[70:71], -v[98:99]
	v_fma_f64 v[56:57], v[104:105], v[56:57], v[164:165]
	v_fma_f64 v[86:87], v[108:109], v[60:61], v[166:167]
	v_fma_f64 v[58:59], v[104:105], v[58:59], -v[106:107]
	v_fma_f64 v[96:97], v[108:109], v[62:63], -v[110:111]
	v_fma_f64 v[84:85], v[100:101], v[122:123], -v[102:103]
	v_add_f64 v[104:105], v[48:49], v[140:141]
	v_add_f64 v[60:61], v[140:141], v[94:95]
	;; [unrolled: 1-line block ×3, first 2 shown]
	v_add_f64 v[108:109], v[92:93], -v[88:89]
	v_add_f64 v[98:99], v[90:91], v[64:65]
	v_add_f64 v[92:93], v[50:51], v[92:93]
	;; [unrolled: 1-line block ×3, first 2 shown]
	v_add_f64 v[122:123], v[140:141], -v[94:95]
	v_add_f64 v[102:103], v[68:69], v[82:83]
	v_add_f64 v[132:133], v[44:45], v[90:91]
	;; [unrolled: 1-line block ×10, first 2 shown]
	v_add_f64 v[152:153], v[80:81], -v[66:67]
	v_add_f64 v[90:91], v[90:91], -v[64:65]
	;; [unrolled: 1-line block ×4, first 2 shown]
	v_fma_f64 v[48:49], v[60:61], -0.5, v[48:49]
	v_fma_f64 v[50:51], v[62:63], -0.5, v[50:51]
	;; [unrolled: 1-line block ×3, first 2 shown]
	v_add_f64 v[98:99], v[70:71], -v[84:85]
	v_fma_f64 v[46:47], v[100:101], -0.5, v[46:47]
	v_add_f64 v[100:101], v[68:69], -v[82:83]
	v_fma_f64 v[102:103], v[102:103], -0.5, v[52:53]
	v_add_f64 v[52:53], v[104:105], v[94:95]
	v_add_f64 v[56:57], v[132:133], v[64:65]
	v_fma_f64 v[110:111], v[110:111], -0.5, v[40:41]
	v_add_f64 v[58:59], v[134:135], v[66:67]
	v_fma_f64 v[104:105], v[120:121], -0.5, v[42:43]
	v_fma_f64 v[106:107], v[106:107], -0.5, v[54:55]
	v_add_f64 v[54:55], v[92:93], v[88:89]
	v_add_f64 v[60:61], v[136:137], v[82:83]
	;; [unrolled: 1-line block ×5, first 2 shown]
	v_fma_f64 v[64:65], v[108:109], s[0:1], v[48:49]
	v_fma_f64 v[68:69], v[108:109], s[4:5], v[48:49]
	;; [unrolled: 1-line block ×16, first 2 shown]
	ds_write_b128 v234, v[52:55]
	ds_write_b128 v234, v[64:67] offset:2400
	ds_write_b128 v234, v[68:71] offset:4800
	ds_write_b128 v242, v[56:59]
	ds_write_b128 v242, v[80:83] offset:2400
	ds_write_b128 v242, v[84:87] offset:4800
	;; [unrolled: 3-line block ×3, first 2 shown]
	s_and_saveexec_b32 s0, vcc_lo
	s_cbranch_execz .LBB0_21
; %bb.20:
	v_mov_b32_e32 v52, 4
	v_lshlrev_b32_sdwa v52, v52, v237 dst_sel:DWORD dst_unused:UNUSED_PAD src0_sel:DWORD src1_sel:WORD_0
	ds_write_b128 v52, v[40:43] offset:14400
	ds_write_b128 v52, v[44:47] offset:16800
	;; [unrolled: 1-line block ×3, first 2 shown]
.LBB0_21:
	s_or_b32 exec_lo, exec_lo, s0
	s_waitcnt lgkmcnt(0)
	s_barrier
	buffer_gl0_inv
	ds_read_b128 v[60:63], v234
	ds_read_b128 v[52:55], v234 offset:2160
	ds_read_b128 v[84:87], v234 offset:14400
	ds_read_b128 v[64:67], v234 offset:16560
	ds_read_b128 v[92:95], v234 offset:7200
	ds_read_b128 v[56:59], v234 offset:4320
	ds_read_b128 v[88:91], v234 offset:9360
	ds_read_b128 v[68:71], v234 offset:11520
	ds_read_b128 v[80:83], v234 offset:18720
	s_and_saveexec_b32 s0, vcc_lo
	s_cbranch_execz .LBB0_23
; %bb.22:
	ds_read_b128 v[40:43], v234 offset:6480
	ds_read_b128 v[44:47], v234 offset:13680
	;; [unrolled: 1-line block ×3, first 2 shown]
.LBB0_23:
	s_or_b32 exec_lo, exec_lo, s0
	s_waitcnt lgkmcnt(4)
	v_mul_f64 v[96:97], v[74:75], v[94:95]
	v_mul_f64 v[98:99], v[78:79], v[86:87]
	;; [unrolled: 1-line block ×4, first 2 shown]
	s_waitcnt lgkmcnt(2)
	v_mul_f64 v[100:101], v[126:127], v[90:91]
	v_mul_f64 v[102:103], v[130:131], v[66:67]
	;; [unrolled: 1-line block ×4, first 2 shown]
	s_waitcnt lgkmcnt(1)
	v_mul_f64 v[108:109], v[146:147], v[70:71]
	s_waitcnt lgkmcnt(0)
	v_mul_f64 v[110:111], v[150:151], v[82:83]
	v_mul_f64 v[120:121], v[146:147], v[68:69]
	;; [unrolled: 1-line block ×3, first 2 shown]
	s_mov_b32 s0, 0xe8584caa
	s_mov_b32 s1, 0xbfebb67a
	;; [unrolled: 1-line block ×3, first 2 shown]
	v_fma_f64 v[92:93], v[72:73], v[92:93], v[96:97]
	v_fma_f64 v[84:85], v[76:77], v[84:85], v[98:99]
	v_fma_f64 v[72:73], v[72:73], v[94:95], -v[74:75]
	v_fma_f64 v[74:75], v[76:77], v[86:87], -v[78:79]
	v_fma_f64 v[76:77], v[124:125], v[88:89], v[100:101]
	v_fma_f64 v[64:65], v[128:129], v[64:65], v[102:103]
	v_fma_f64 v[78:79], v[124:125], v[90:91], -v[104:105]
	v_fma_f64 v[66:67], v[128:129], v[66:67], -v[106:107]
	;; [unrolled: 4-line block ×3, first 2 shown]
	v_add_f64 v[100:101], v[60:61], v[92:93]
	v_add_f64 v[86:87], v[92:93], v[84:85]
	v_add_f64 v[92:93], v[92:93], -v[84:85]
	v_add_f64 v[88:89], v[72:73], v[74:75]
	v_add_f64 v[102:103], v[72:73], -v[74:75]
	v_add_f64 v[90:91], v[76:77], v[64:65]
	v_add_f64 v[72:73], v[62:63], v[72:73]
	;; [unrolled: 1-line block ×9, first 2 shown]
	v_add_f64 v[78:79], v[78:79], -v[66:67]
	v_add_f64 v[120:121], v[76:77], -v[64:65]
	;; [unrolled: 1-line block ×4, first 2 shown]
	v_fma_f64 v[86:87], v[86:87], -0.5, v[60:61]
	v_fma_f64 v[88:89], v[88:89], -0.5, v[62:63]
	;; [unrolled: 1-line block ×3, first 2 shown]
	v_add_f64 v[52:53], v[100:101], v[84:85]
	v_fma_f64 v[94:95], v[94:95], -0.5, v[54:55]
	v_add_f64 v[54:55], v[72:73], v[74:75]
	v_fma_f64 v[96:97], v[96:97], -0.5, v[56:57]
	;; [unrolled: 2-line block ×3, first 2 shown]
	v_add_f64 v[58:59], v[106:107], v[66:67]
	v_add_f64 v[60:61], v[108:109], v[80:81]
	;; [unrolled: 1-line block ×3, first 2 shown]
	v_fma_f64 v[64:65], v[102:103], s[0:1], v[86:87]
	v_fma_f64 v[68:69], v[102:103], s[4:5], v[86:87]
	;; [unrolled: 1-line block ×12, first 2 shown]
	ds_write_b128 v234, v[52:55]
	ds_write_b128 v234, v[56:59] offset:2160
	ds_write_b128 v234, v[60:63] offset:4320
	;; [unrolled: 1-line block ×8, first 2 shown]
	s_and_saveexec_b32 s6, vcc_lo
	s_cbranch_execz .LBB0_25
; %bb.24:
	v_mul_f64 v[52:53], v[114:115], v[44:45]
	v_mul_f64 v[54:55], v[118:119], v[48:49]
	;; [unrolled: 1-line block ×4, first 2 shown]
	v_fma_f64 v[46:47], v[112:113], v[46:47], -v[52:53]
	v_fma_f64 v[50:51], v[116:117], v[50:51], -v[54:55]
	v_fma_f64 v[44:45], v[112:113], v[44:45], v[56:57]
	v_fma_f64 v[48:49], v[116:117], v[48:49], v[58:59]
	v_add_f64 v[58:59], v[42:43], v[46:47]
	v_add_f64 v[52:53], v[46:47], v[50:51]
	v_add_f64 v[60:61], v[46:47], -v[50:51]
	v_add_f64 v[54:55], v[44:45], v[48:49]
	v_add_f64 v[56:57], v[44:45], -v[48:49]
	v_add_f64 v[44:45], v[40:41], v[44:45]
	v_fma_f64 v[52:53], v[52:53], -0.5, v[42:43]
	v_add_f64 v[42:43], v[58:59], v[50:51]
	v_fma_f64 v[54:55], v[54:55], -0.5, v[40:41]
	v_add_f64 v[40:41], v[44:45], v[48:49]
	v_fma_f64 v[50:51], v[56:57], s[4:5], v[52:53]
	v_fma_f64 v[46:47], v[56:57], s[0:1], v[52:53]
	;; [unrolled: 1-line block ×4, first 2 shown]
	ds_write_b128 v234, v[40:43] offset:6480
	ds_write_b128 v234, v[48:51] offset:13680
	;; [unrolled: 1-line block ×3, first 2 shown]
.LBB0_25:
	s_or_b32 exec_lo, exec_lo, s6
	s_waitcnt lgkmcnt(0)
	s_barrier
	buffer_gl0_inv
	ds_read_b128 v[40:43], v234
	ds_read_b128 v[44:47], v234 offset:4320
	ds_read_b128 v[48:51], v234 offset:2160
	;; [unrolled: 1-line block ×5, first 2 shown]
	v_mad_u64_u32 v[80:81], null, s10, v232, 0
	ds_read_b128 v[64:67], v234 offset:17280
	v_mad_u64_u32 v[86:87], null, s8, v233, 0
	ds_read_b128 v[68:71], v234 offset:10800
	ds_read_b128 v[72:75], v234 offset:15120
	;; [unrolled: 1-line block ×3, first 2 shown]
	s_mov_b32 s0, 0xa0ce5129
	s_mov_b32 s1, 0x3f4845c8
	s_mul_i32 s4, s9, 0x10e0
	s_mul_hi_u32 s5, s8, 0x10e0
	s_mul_i32 s6, s8, 0x10e0
	s_add_i32 s5, s5, s4
	s_waitcnt lgkmcnt(9)
	v_mul_f64 v[82:83], v[2:3], v[42:43]
	v_mul_f64 v[2:3], v[2:3], v[40:41]
	s_waitcnt lgkmcnt(8)
	v_mul_f64 v[84:85], v[38:39], v[46:47]
	v_mul_f64 v[38:39], v[38:39], v[44:45]
	;; [unrolled: 3-line block ×3, first 2 shown]
	v_fma_f64 v[40:41], v[0:1], v[40:41], v[82:83]
	v_fma_f64 v[2:3], v[0:1], v[42:43], -v[2:3]
	v_fma_f64 v[42:43], v[36:37], v[44:45], v[84:85]
	v_fma_f64 v[38:39], v[36:37], v[46:47], -v[38:39]
	v_mad_u64_u32 v[88:89], null, s11, v232, v[81:82]
	v_mul_f64 v[44:45], v[22:23], v[58:59]
	v_mul_f64 v[22:23], v[22:23], v[56:57]
	;; [unrolled: 1-line block ×6, first 2 shown]
	v_mad_u64_u32 v[89:90], null, s9, v233, v[87:88]
	v_mov_b32_e32 v81, v88
	v_mul_f64 v[84:85], v[6:7], v[50:51]
	v_mul_f64 v[6:7], v[6:7], v[48:49]
	v_mul_f64 v[90:91], v[14:15], v[54:55]
	v_mul_f64 v[14:15], v[14:15], v[52:53]
	v_lshlrev_b64 v[80:81], 4, v[80:81]
	v_mov_b32_e32 v87, v89
	s_waitcnt lgkmcnt(1)
	v_mul_f64 v[88:89], v[30:31], v[74:75]
	v_mul_f64 v[0:1], v[40:41], s[0:1]
	;; [unrolled: 1-line block ×6, first 2 shown]
	v_lshlrev_b64 v[86:87], 4, v[86:87]
	s_waitcnt lgkmcnt(0)
	v_mul_f64 v[40:41], v[34:35], v[78:79]
	v_mul_f64 v[34:35], v[34:35], v[76:77]
	v_add_co_u32 v42, vcc_lo, s2, v80
	v_add_co_ci_u32_e32 v43, vcc_lo, s3, v81, vcc_lo
	v_fma_f64 v[44:45], v[20:21], v[56:57], v[44:45]
	v_fma_f64 v[20:21], v[20:21], v[58:59], -v[22:23]
	v_add_co_u32 v42, vcc_lo, v42, v86
	v_add_co_ci_u32_e32 v43, vcc_lo, v43, v87, vcc_lo
	v_fma_f64 v[22:23], v[24:25], v[60:61], v[46:47]
	v_add_co_u32 v80, vcc_lo, v42, s6
	v_add_co_ci_u32_e32 v81, vcc_lo, s5, v43, vcc_lo
	v_fma_f64 v[24:25], v[24:25], v[62:63], -v[26:27]
	v_add_co_u32 v46, vcc_lo, v80, s6
	v_add_co_ci_u32_e32 v47, vcc_lo, s5, v81, vcc_lo
	global_store_dwordx4 v[42:43], v[0:3], off
	global_store_dwordx4 v[80:81], v[36:39], off
	v_fma_f64 v[26:27], v[8:9], v[64:65], v[82:83]
	v_fma_f64 v[10:11], v[8:9], v[66:67], -v[10:11]
	v_fma_f64 v[38:39], v[4:5], v[48:49], v[84:85]
	v_fma_f64 v[42:43], v[4:5], v[50:51], -v[6:7]
	;; [unrolled: 2-line block ×4, first 2 shown]
	v_add_co_u32 v36, vcc_lo, v46, s6
	v_fma_f64 v[56:57], v[28:29], v[72:73], v[88:89]
	v_fma_f64 v[28:29], v[28:29], v[74:75], -v[30:31]
	v_fma_f64 v[30:31], v[32:33], v[76:77], v[40:41]
	v_fma_f64 v[32:33], v[32:33], v[78:79], -v[34:35]
	v_add_co_ci_u32_e32 v37, vcc_lo, s5, v47, vcc_lo
	v_add_co_u32 v34, vcc_lo, v36, s6
	v_mul_f64 v[0:1], v[44:45], s[0:1]
	v_mul_f64 v[2:3], v[20:21], s[0:1]
	v_add_co_ci_u32_e32 v35, vcc_lo, s5, v37, vcc_lo
	v_mul_f64 v[4:5], v[22:23], s[0:1]
	v_mul_f64 v[6:7], v[24:25], s[0:1]
	s_mul_i32 s2, s9, 0xffffc4f0
	v_mad_u64_u32 v[40:41], null, 0xffffc4f0, s8, v[34:35]
	s_sub_i32 s2, s2, s8
	v_mul_f64 v[8:9], v[26:27], s[0:1]
	v_mul_f64 v[10:11], v[10:11], s[0:1]
	;; [unrolled: 1-line block ×5, first 2 shown]
	v_add_nc_u32_e32 v41, s2, v41
	v_mul_f64 v[18:19], v[50:51], s[0:1]
	v_mul_f64 v[20:21], v[52:53], s[0:1]
	;; [unrolled: 1-line block ×7, first 2 shown]
	v_add_co_u32 v32, vcc_lo, v40, s6
	v_add_co_ci_u32_e32 v33, vcc_lo, s5, v41, vcc_lo
	global_store_dwordx4 v[46:47], v[0:3], off
	v_add_co_u32 v0, vcc_lo, v32, s6
	v_add_co_ci_u32_e32 v1, vcc_lo, s5, v33, vcc_lo
	global_store_dwordx4 v[36:37], v[4:7], off
	;; [unrolled: 3-line block ×4, first 2 shown]
	global_store_dwordx4 v[32:33], v[16:19], off
	global_store_dwordx4 v[0:1], v[20:23], off
	;; [unrolled: 1-line block ×4, first 2 shown]
.LBB0_26:
	s_endpgm
	.section	.rodata,"a",@progbits
	.p2align	6, 0x0
	.amdhsa_kernel bluestein_single_back_len1350_dim1_dp_op_CI_CI
		.amdhsa_group_segment_fixed_size 21600
		.amdhsa_private_segment_fixed_size 0
		.amdhsa_kernarg_size 104
		.amdhsa_user_sgpr_count 6
		.amdhsa_user_sgpr_private_segment_buffer 1
		.amdhsa_user_sgpr_dispatch_ptr 0
		.amdhsa_user_sgpr_queue_ptr 0
		.amdhsa_user_sgpr_kernarg_segment_ptr 1
		.amdhsa_user_sgpr_dispatch_id 0
		.amdhsa_user_sgpr_flat_scratch_init 0
		.amdhsa_user_sgpr_private_segment_size 0
		.amdhsa_wavefront_size32 1
		.amdhsa_uses_dynamic_stack 0
		.amdhsa_system_sgpr_private_segment_wavefront_offset 0
		.amdhsa_system_sgpr_workgroup_id_x 1
		.amdhsa_system_sgpr_workgroup_id_y 0
		.amdhsa_system_sgpr_workgroup_id_z 0
		.amdhsa_system_sgpr_workgroup_info 0
		.amdhsa_system_vgpr_workitem_id 0
		.amdhsa_next_free_vgpr 249
		.amdhsa_next_free_sgpr 22
		.amdhsa_reserve_vcc 1
		.amdhsa_reserve_flat_scratch 0
		.amdhsa_float_round_mode_32 0
		.amdhsa_float_round_mode_16_64 0
		.amdhsa_float_denorm_mode_32 3
		.amdhsa_float_denorm_mode_16_64 3
		.amdhsa_dx10_clamp 1
		.amdhsa_ieee_mode 1
		.amdhsa_fp16_overflow 0
		.amdhsa_workgroup_processor_mode 1
		.amdhsa_memory_ordered 1
		.amdhsa_forward_progress 0
		.amdhsa_shared_vgpr_count 0
		.amdhsa_exception_fp_ieee_invalid_op 0
		.amdhsa_exception_fp_denorm_src 0
		.amdhsa_exception_fp_ieee_div_zero 0
		.amdhsa_exception_fp_ieee_overflow 0
		.amdhsa_exception_fp_ieee_underflow 0
		.amdhsa_exception_fp_ieee_inexact 0
		.amdhsa_exception_int_div_zero 0
	.end_amdhsa_kernel
	.text
.Lfunc_end0:
	.size	bluestein_single_back_len1350_dim1_dp_op_CI_CI, .Lfunc_end0-bluestein_single_back_len1350_dim1_dp_op_CI_CI
                                        ; -- End function
	.section	.AMDGPU.csdata,"",@progbits
; Kernel info:
; codeLenInByte = 16032
; NumSgprs: 24
; NumVgprs: 249
; ScratchSize: 0
; MemoryBound: 0
; FloatMode: 240
; IeeeMode: 1
; LDSByteSize: 21600 bytes/workgroup (compile time only)
; SGPRBlocks: 2
; VGPRBlocks: 31
; NumSGPRsForWavesPerEU: 24
; NumVGPRsForWavesPerEU: 249
; Occupancy: 4
; WaveLimiterHint : 1
; COMPUTE_PGM_RSRC2:SCRATCH_EN: 0
; COMPUTE_PGM_RSRC2:USER_SGPR: 6
; COMPUTE_PGM_RSRC2:TRAP_HANDLER: 0
; COMPUTE_PGM_RSRC2:TGID_X_EN: 1
; COMPUTE_PGM_RSRC2:TGID_Y_EN: 0
; COMPUTE_PGM_RSRC2:TGID_Z_EN: 0
; COMPUTE_PGM_RSRC2:TIDIG_COMP_CNT: 0
	.text
	.p2alignl 6, 3214868480
	.fill 48, 4, 3214868480
	.type	__hip_cuid_238bf7a84fdd1655,@object ; @__hip_cuid_238bf7a84fdd1655
	.section	.bss,"aw",@nobits
	.globl	__hip_cuid_238bf7a84fdd1655
__hip_cuid_238bf7a84fdd1655:
	.byte	0                               ; 0x0
	.size	__hip_cuid_238bf7a84fdd1655, 1

	.ident	"AMD clang version 19.0.0git (https://github.com/RadeonOpenCompute/llvm-project roc-6.4.0 25133 c7fe45cf4b819c5991fe208aaa96edf142730f1d)"
	.section	".note.GNU-stack","",@progbits
	.addrsig
	.addrsig_sym __hip_cuid_238bf7a84fdd1655
	.amdgpu_metadata
---
amdhsa.kernels:
  - .args:
      - .actual_access:  read_only
        .address_space:  global
        .offset:         0
        .size:           8
        .value_kind:     global_buffer
      - .actual_access:  read_only
        .address_space:  global
        .offset:         8
        .size:           8
        .value_kind:     global_buffer
      - .actual_access:  read_only
        .address_space:  global
        .offset:         16
        .size:           8
        .value_kind:     global_buffer
      - .actual_access:  read_only
        .address_space:  global
        .offset:         24
        .size:           8
        .value_kind:     global_buffer
      - .actual_access:  read_only
        .address_space:  global
        .offset:         32
        .size:           8
        .value_kind:     global_buffer
      - .offset:         40
        .size:           8
        .value_kind:     by_value
      - .address_space:  global
        .offset:         48
        .size:           8
        .value_kind:     global_buffer
      - .address_space:  global
        .offset:         56
        .size:           8
        .value_kind:     global_buffer
      - .address_space:  global
        .offset:         64
        .size:           8
        .value_kind:     global_buffer
      - .address_space:  global
        .offset:         72
        .size:           8
        .value_kind:     global_buffer
      - .offset:         80
        .size:           4
        .value_kind:     by_value
      - .address_space:  global
        .offset:         88
        .size:           8
        .value_kind:     global_buffer
      - .address_space:  global
        .offset:         96
        .size:           8
        .value_kind:     global_buffer
    .group_segment_fixed_size: 21600
    .kernarg_segment_align: 8
    .kernarg_segment_size: 104
    .language:       OpenCL C
    .language_version:
      - 2
      - 0
    .max_flat_workgroup_size: 135
    .name:           bluestein_single_back_len1350_dim1_dp_op_CI_CI
    .private_segment_fixed_size: 0
    .sgpr_count:     24
    .sgpr_spill_count: 0
    .symbol:         bluestein_single_back_len1350_dim1_dp_op_CI_CI.kd
    .uniform_work_group_size: 1
    .uses_dynamic_stack: false
    .vgpr_count:     249
    .vgpr_spill_count: 0
    .wavefront_size: 32
    .workgroup_processor_mode: 1
amdhsa.target:   amdgcn-amd-amdhsa--gfx1030
amdhsa.version:
  - 1
  - 2
...

	.end_amdgpu_metadata
